;; amdgpu-corpus repo=ROCm/rocFFT kind=compiled arch=gfx1030 opt=O3
	.text
	.amdgcn_target "amdgcn-amd-amdhsa--gfx1030"
	.amdhsa_code_object_version 6
	.protected	bluestein_single_fwd_len1664_dim1_dp_op_CI_CI ; -- Begin function bluestein_single_fwd_len1664_dim1_dp_op_CI_CI
	.globl	bluestein_single_fwd_len1664_dim1_dp_op_CI_CI
	.p2align	8
	.type	bluestein_single_fwd_len1664_dim1_dp_op_CI_CI,@function
bluestein_single_fwd_len1664_dim1_dp_op_CI_CI: ; @bluestein_single_fwd_len1664_dim1_dp_op_CI_CI
; %bb.0:
	s_mov_b64 s[50:51], s[2:3]
	s_mov_b64 s[48:49], s[0:1]
	s_load_dwordx4 s[0:3], s[4:5], 0x28
	v_mul_u32_u24_e32 v1, 0x13c, v0
	v_mov_b32_e32 v245, 0
	s_add_u32 s48, s48, s7
	s_addc_u32 s49, s49, 0
	v_lshrrev_b32_e32 v1, 16, v1
	v_add_nc_u32_e32 v244, s6, v1
	s_waitcnt lgkmcnt(0)
	v_cmp_gt_u64_e32 vcc_lo, s[0:1], v[244:245]
	s_and_saveexec_b32 s0, vcc_lo
	s_cbranch_execz .LBB0_15
; %bb.1:
	v_mul_lo_u16 v1, 0xd0, v1
	s_clause 0x1
	s_load_dwordx2 s[14:15], s[4:5], 0x0
	s_load_dwordx2 s[12:13], s[4:5], 0x38
	v_sub_nc_u16 v0, v0, v1
	v_and_b32_e32 v241, 0xffff, v0
	v_cmp_gt_u16_e32 vcc_lo, 0x80, v0
	v_lshlrev_b32_e32 v254, 4, v241
	v_or_b32_e32 v246, 0x80, v241
	v_or_b32_e32 v144, 0x100, v241
	;; [unrolled: 1-line block ×12, first 2 shown]
	buffer_store_dword v0, off, s[48:51], 0 offset:56 ; 4-byte Folded Spill
	s_and_saveexec_b32 s1, vcc_lo
	s_cbranch_execz .LBB0_3
; %bb.2:
	s_load_dwordx2 s[6:7], s[4:5], 0x18
	v_or_b32_e32 v94, 0x600, v241
	v_lshlrev_b32_e32 v75, 4, v251
	v_lshlrev_b32_e32 v0, 4, v246
	;; [unrolled: 1-line block ×8, first 2 shown]
	s_waitcnt lgkmcnt(0)
	s_load_dwordx4 s[8:11], s[6:7], 0x0
	s_clause 0x3
	global_load_dwordx4 v[12:15], v254, s[14:15]
	global_load_dwordx4 v[8:11], v0, s[14:15]
	global_load_dwordx4 v[4:7], v1, s[14:15]
	global_load_dwordx4 v[0:3], v2, s[14:15]
	s_waitcnt lgkmcnt(0)
	v_mad_u64_u32 v[16:17], null, s10, v244, 0
	v_mad_u64_u32 v[18:19], null, s8, v241, 0
	;; [unrolled: 1-line block ×8, first 2 shown]
	v_mov_b32_e32 v28, v33
	v_mad_u64_u32 v[30:31], null, s9, v241, v[19:20]
	v_mad_u64_u32 v[33:34], null, s9, v246, v[21:22]
	;; [unrolled: 1-line block ×3, first 2 shown]
	v_mov_b32_e32 v17, v29
	v_mad_u64_u32 v[35:36], null, s9, v247, v[25:26]
	v_mad_u64_u32 v[40:41], null, s8, v249, 0
	;; [unrolled: 1-line block ×3, first 2 shown]
	v_mov_b32_e32 v19, v30
	v_lshlrev_b64 v[16:17], 4, v[16:17]
	v_mad_u64_u32 v[37:38], null, s9, v245, v[28:29]
	v_mov_b32_e32 v21, v33
	v_mad_u64_u32 v[60:61], null, s8, v251, 0
	v_mov_b32_e32 v27, v36
	v_lshlrev_b64 v[18:19], 4, v[18:19]
	v_mov_b32_e32 v36, v41
	v_mad_u64_u32 v[48:49], null, s8, v250, 0
	v_mov_b32_e32 v23, v34
	v_add_co_u32 v90, s0, s2, v16
	v_lshlrev_b64 v[20:21], 4, v[20:21]
	v_add_co_ci_u32_e64 v91, s0, s3, v17, s0
	v_mov_b32_e32 v25, v35
	v_mov_b32_e32 v33, v37
	v_mad_u64_u32 v[36:37], null, s9, v249, v[36:37]
	v_lshlrev_b64 v[22:23], 4, v[22:23]
	v_add_co_u32 v18, s0, v90, v18
	v_mov_b32_e32 v52, v61
	v_add_co_ci_u32_e64 v19, s0, v91, v19, s0
	v_lshlrev_b32_e32 v38, 4, v248
	v_mov_b32_e32 v37, v49
	v_lshlrev_b64 v[16:17], 4, v[24:25]
	v_add_co_u32 v20, s0, v90, v20
	v_add_co_ci_u32_e64 v21, s0, v91, v21, s0
	v_mad_u64_u32 v[52:53], null, s9, v251, v[52:53]
	v_add_co_u32 v24, s0, v90, v22
	v_lshlrev_b64 v[34:35], 4, v[26:27]
	v_mov_b32_e32 v41, v36
	v_mad_u64_u32 v[49:50], null, s9, v250, v[37:38]
	v_add_co_ci_u32_e64 v25, s0, v91, v23, s0
	v_add_co_u32 v28, s0, v90, v16
	v_lshlrev_b64 v[32:33], 4, v[32:33]
	v_add_co_ci_u32_e64 v29, s0, v91, v17, s0
	v_mad_u64_u32 v[68:69], null, s8, v252, 0
	v_add_co_u32 v34, s0, v90, v34
	v_lshlrev_b64 v[50:51], 4, v[40:41]
	v_mov_b32_e32 v61, v52
	v_add_co_ci_u32_e64 v35, s0, v91, v35, s0
	v_add_co_u32 v42, s0, v90, v32
	v_lshlrev_b64 v[48:49], 4, v[48:49]
	v_mad_u64_u32 v[72:73], null, s8, v253, 0
	v_add_co_ci_u32_e64 v43, s0, v91, v33, s0
	v_add_co_u32 v50, s0, v90, v50
	v_lshlrev_b64 v[60:61], 4, v[60:61]
	v_mov_b32_e32 v62, v69
	v_add_co_ci_u32_e64 v51, s0, v91, v51, s0
	v_add_co_u32 v56, s0, v90, v48
	v_mad_u64_u32 v[84:85], null, s8, v94, 0
	v_add_co_ci_u32_e64 v57, s0, v91, v49, s0
	v_mad_u64_u32 v[62:63], null, s9, v252, v[62:63]
	v_add_co_u32 v64, s0, v90, v60
	v_mov_b32_e32 v60, v73
	v_mad_u64_u32 v[76:77], null, s8, v255, 0
	v_mov_b32_e32 v74, v85
	v_mov_b32_e32 v69, v62
	v_mad_u64_u32 v[70:71], null, s9, v253, v[60:61]
	v_add_co_ci_u32_e64 v65, s0, v91, v61, s0
	v_mov_b32_e32 v71, v77
	v_mad_u64_u32 v[82:83], null, s9, v94, v[74:75]
	v_lshlrev_b64 v[68:69], 4, v[68:69]
	v_mov_b32_e32 v73, v70
	v_mad_u64_u32 v[77:78], null, s9, v255, v[71:72]
	v_lshlrev_b32_e32 v53, 4, v249
	v_lshlrev_b32_e32 v63, 4, v250
	v_lshlrev_b64 v[80:81], 4, v[72:73]
	v_add_co_u32 v78, s0, v90, v68
	v_mov_b32_e32 v85, v82
	v_add_co_ci_u32_e64 v79, s0, v91, v69, s0
	v_lshlrev_b64 v[86:87], 4, v[76:77]
	s_clause 0x3
	global_load_dwordx4 v[16:19], v[18:19], off
	global_load_dwordx4 v[20:23], v[20:21], off
	;; [unrolled: 1-line block ×4, first 2 shown]
	v_add_co_u32 v80, s0, v90, v80
	v_lshlrev_b64 v[84:85], 4, v[84:85]
	global_load_dwordx4 v[32:35], v[34:35], off
	global_load_dwordx4 v[36:39], v38, s[14:15]
	global_load_dwordx4 v[40:43], v[42:43], off
	global_load_dwordx4 v[44:47], v44, s[14:15]
	;; [unrolled: 2-line block ×3, first 2 shown]
	global_load_dwordx4 v[56:59], v[56:57], off
	s_clause 0x1
	global_load_dwordx4 v[60:63], v63, s[14:15]
	global_load_dwordx4 v[68:71], v75, s[14:15]
	s_clause 0x1
	global_load_dwordx4 v[64:67], v[64:65], off
	global_load_dwordx4 v[72:75], v[78:79], off
	v_lshlrev_b32_e32 v78, 4, v252
	v_add_co_ci_u32_e64 v81, s0, v91, v81, s0
	v_add_co_u32 v88, s0, v90, v86
	v_add_co_ci_u32_e64 v89, s0, v91, v87, s0
	v_add_co_u32 v100, s0, v90, v84
	global_load_dwordx4 v[76:79], v78, s[14:15]
	global_load_dwordx4 v[80:83], v[80:81], off
	v_add_co_ci_u32_e64 v101, s0, v91, v85, s0
	global_load_dwordx4 v[84:87], v92, s[14:15]
	global_load_dwordx4 v[88:91], v[88:89], off
	s_clause 0x1
	global_load_dwordx4 v[92:95], v93, s[14:15]
	global_load_dwordx4 v[96:99], v96, s[14:15]
	global_load_dwordx4 v[100:103], v[100:101], off
	s_waitcnt vmcnt(21)
	v_mul_f64 v[104:105], v[18:19], v[14:15]
	v_mul_f64 v[14:15], v[16:17], v[14:15]
	s_waitcnt vmcnt(20)
	v_mul_f64 v[106:107], v[22:23], v[10:11]
	v_mul_f64 v[108:109], v[20:21], v[10:11]
	s_waitcnt vmcnt(19)
	v_mul_f64 v[110:111], v[26:27], v[6:7]
	v_mul_f64 v[112:113], v[24:25], v[6:7]
	s_waitcnt vmcnt(18)
	v_mul_f64 v[114:115], v[30:31], v[2:3]
	v_mul_f64 v[116:117], v[28:29], v[2:3]
	s_waitcnt vmcnt(16)
	v_mul_f64 v[118:119], v[34:35], v[38:39]
	v_mul_f64 v[38:39], v[32:33], v[38:39]
	s_waitcnt vmcnt(14)
	v_mul_f64 v[120:121], v[42:43], v[46:47]
	v_mul_f64 v[46:47], v[40:41], v[46:47]
	s_waitcnt vmcnt(12)
	v_mul_f64 v[122:123], v[50:51], v[54:55]
	v_mul_f64 v[54:55], v[48:49], v[54:55]
	s_waitcnt vmcnt(10)
	v_mul_f64 v[124:125], v[58:59], v[62:63]
	v_mul_f64 v[62:63], v[56:57], v[62:63]
	s_waitcnt vmcnt(8)
	v_mul_f64 v[126:127], v[66:67], v[70:71]
	v_mul_f64 v[70:71], v[64:65], v[70:71]
	v_fma_f64 v[10:11], v[16:17], v[12:13], v[104:105]
	s_waitcnt vmcnt(6)
	v_mul_f64 v[128:129], v[74:75], v[78:79]
	v_mul_f64 v[78:79], v[72:73], v[78:79]
	s_waitcnt vmcnt(4)
	v_mul_f64 v[130:131], v[82:83], v[86:87]
	v_mul_f64 v[86:87], v[80:81], v[86:87]
	;; [unrolled: 3-line block ×4, first 2 shown]
	v_fma_f64 v[12:13], v[18:19], v[12:13], -v[14:15]
	v_fma_f64 v[6:7], v[20:21], v[8:9], v[106:107]
	v_fma_f64 v[8:9], v[22:23], v[8:9], -v[108:109]
	v_fma_f64 v[2:3], v[24:25], v[4:5], v[110:111]
	;; [unrolled: 2-line block ×12, first 2 shown]
	v_fma_f64 v[52:53], v[102:103], v[96:97], -v[98:99]
	ds_write_b128 v254, v[10:13]
	ds_write_b128 v254, v[6:9] offset:2048
	ds_write_b128 v254, v[2:5] offset:4096
	;; [unrolled: 1-line block ×12, first 2 shown]
.LBB0_3:
	s_or_b32 exec_lo, exec_lo, s1
	s_clause 0x1
	s_load_dwordx2 s[0:1], s[4:5], 0x20
	s_load_dwordx2 s[2:3], s[4:5], 0x8
	s_waitcnt lgkmcnt(0)
	s_waitcnt_vscnt null, 0x0
	s_barrier
	buffer_gl0_inv
                                        ; implicit-def: $vgpr20_vgpr21
                                        ; implicit-def: $vgpr48_vgpr49
                                        ; implicit-def: $vgpr56_vgpr57
                                        ; implicit-def: $vgpr44_vgpr45
                                        ; implicit-def: $vgpr40_vgpr41
                                        ; implicit-def: $vgpr36_vgpr37
                                        ; implicit-def: $vgpr32_vgpr33
                                        ; implicit-def: $vgpr28_vgpr29
                                        ; implicit-def: $vgpr24_vgpr25
                                        ; implicit-def: $vgpr64_vgpr65
                                        ; implicit-def: $vgpr68_vgpr69
                                        ; implicit-def: $vgpr60_vgpr61
                                        ; implicit-def: $vgpr52_vgpr53
	s_and_saveexec_b32 s4, vcc_lo
	s_cbranch_execz .LBB0_5
; %bb.4:
	ds_read_b128 v[20:23], v254
	ds_read_b128 v[52:55], v254 offset:2048
	ds_read_b128 v[60:63], v254 offset:4096
	;; [unrolled: 1-line block ×12, first 2 shown]
.LBB0_5:
	s_or_b32 exec_lo, exec_lo, s4
	s_waitcnt lgkmcnt(0)
	v_add_f64 v[90:91], v[54:55], -v[26:27]
	s_mov_b32 s8, 0x4267c47c
	s_mov_b32 s9, 0xbfddbe06
	v_add_f64 v[88:89], v[24:25], v[52:53]
	v_add_f64 v[72:73], v[62:63], -v[30:31]
	s_mov_b32 s10, 0xe00740e9
	s_mov_b32 s16, 0x42a4c3d2
	;; [unrolled: 1-line block ×4, first 2 shown]
	v_add_f64 v[74:75], v[28:29], v[60:61]
	v_add_f64 v[132:133], v[52:53], -v[24:25]
	s_mov_b32 s4, 0x1ea71119
	s_mov_b32 s5, 0x3fe22d96
	v_add_f64 v[126:127], v[26:27], v[54:55]
	v_add_f64 v[92:93], v[60:61], -v[28:29]
	v_add_f64 v[84:85], v[30:31], v[62:63]
	v_add_f64 v[82:83], v[50:51], -v[34:35]
	s_mov_b32 s22, 0x66966769
	s_mov_b32 s23, 0xbfefc445
	v_add_f64 v[80:81], v[48:49], v[32:33]
	v_add_f64 v[112:113], v[48:49], -v[32:33]
	s_mov_b32 s6, 0xebaa3ed8
	v_mul_f64 v[110:111], v[90:91], s[8:9]
	s_mov_b32 s7, 0x3fbedb7d
	v_add_f64 v[104:105], v[50:51], v[34:35]
	v_add_f64 v[100:101], v[58:59], -v[38:39]
	v_mul_f64 v[102:103], v[72:73], s[16:17]
	s_mov_b32 s20, 0x2ef20147
	s_mov_b32 s21, 0xbfedeba7
	v_add_f64 v[98:99], v[56:57], v[36:37]
	v_add_f64 v[114:115], v[56:57], -v[36:37]
	s_mov_b32 s18, 0xb2365da1
	v_mul_f64 v[128:129], v[132:133], s[8:9]
	s_mov_b32 s19, 0xbfd6b1d8
	v_add_f64 v[106:107], v[58:59], v[38:39]
	v_add_f64 v[96:97], v[70:71], -v[42:43]
	v_mul_f64 v[120:121], v[92:93], s[16:17]
	s_mov_b32 s30, 0x24c2f84
	v_mul_f64 v[122:123], v[82:83], s[22:23]
	s_mov_b32 s31, 0xbfe5384d
	v_add_f64 v[94:95], v[40:41], v[68:69]
	v_add_f64 v[116:117], v[68:69], -v[40:41]
	v_mul_f64 v[134:135], v[112:113], s[22:23]
	s_mov_b32 s28, 0xd0032e0c
	v_fma_f64 v[0:1], v[88:89], s[10:11], v[110:111]
	s_mov_b32 s29, 0xbfe7f3cc
	v_add_f64 v[108:109], v[42:43], v[70:71]
	v_mul_f64 v[136:137], v[100:101], s[20:21]
	v_fma_f64 v[2:3], v[74:75], s[4:5], v[102:103]
	v_add_f64 v[78:79], v[66:67], -v[46:47]
	s_mov_b32 s42, 0x4bc48dbf
	s_mov_b32 s43, 0xbfcea1e5
	v_mul_f64 v[145:146], v[114:115], s[20:21]
	v_add_f64 v[76:77], v[44:45], v[64:65]
	v_add_f64 v[118:119], v[64:65], -v[44:45]
	s_mov_b32 s26, 0x93053d00
	s_mov_b32 s27, 0xbfef11f4
	v_mul_f64 v[142:143], v[96:97], s[30:31]
	v_fma_f64 v[4:5], v[84:85], s[4:5], -v[120:121]
	v_add_f64 v[86:87], v[46:47], v[66:67]
	v_mul_f64 v[219:220], v[90:91], s[16:17]
	v_mul_f64 v[159:160], v[72:73], s[20:21]
	v_mul_f64 v[223:224], v[132:133], s[16:17]
	v_mul_f64 v[157:158], v[116:117], s[30:31]
	v_mul_f64 v[169:170], v[92:93], s[20:21]
	v_mul_f64 v[167:168], v[82:83], s[42:43]
	v_add_f64 v[0:1], v[20:21], v[0:1]
	v_mul_f64 v[175:176], v[112:113], s[42:43]
	s_mov_b32 s37, 0x3fe5384d
	s_mov_b32 s36, s30
	;; [unrolled: 1-line block ×3, first 2 shown]
	v_mul_f64 v[149:150], v[78:79], s[42:43]
	v_mul_f64 v[173:174], v[100:101], s[36:37]
	v_mul_f64 v[185:186], v[114:115], s[36:37]
	s_mov_b32 s24, s22
	s_mov_b32 s35, 0x3fddbe06
	v_mul_f64 v[163:164], v[118:119], s[42:43]
	v_mul_f64 v[179:180], v[96:97], s[24:25]
	;; [unrolled: 1-line block ×3, first 2 shown]
	s_mov_b32 s34, s8
	v_mul_f64 v[229:230], v[90:91], s[22:23]
	v_mul_f64 v[181:182], v[78:79], s[34:35]
	v_mul_f64 v[189:190], v[118:119], s[34:35]
	v_fma_f64 v[6:7], v[74:75], s[18:19], v[159:160]
	v_mul_f64 v[183:184], v[72:73], s[42:43]
	v_mul_f64 v[231:232], v[132:133], s[22:23]
	v_fma_f64 v[8:9], v[84:85], s[18:19], -v[169:170]
	v_mul_f64 v[195:196], v[92:93], s[42:43]
	v_add_f64 v[0:1], v[2:3], v[0:1]
	v_fma_f64 v[2:3], v[126:127], s[10:11], -v[128:129]
	s_mov_b32 s39, 0x3fedeba7
	s_mov_b32 s38, s20
	v_mul_f64 v[197:198], v[100:101], s[34:35]
	v_mul_f64 v[191:192], v[82:83], s[38:39]
	;; [unrolled: 1-line block ×14, first 2 shown]
	v_fma_f64 v[10:11], v[74:75], s[26:27], v[183:184]
	v_mul_f64 v[147:148], v[100:101], s[22:23]
	v_mul_f64 v[161:162], v[114:115], s[22:23]
	v_fma_f64 v[12:13], v[84:85], s[26:27], -v[195:196]
	s_mov_b32 s45, 0x3fcea1e5
	v_add_f64 v[2:3], v[22:23], v[2:3]
	s_mov_b32 s44, s42
	s_mov_b32 s41, 0x3fea55e2
	v_mul_f64 v[138:139], v[96:97], s[44:45]
	v_mul_f64 v[153:154], v[116:117], s[44:45]
	s_mov_b32 s40, s16
	v_mul_f64 v[237:238], v[90:91], s[30:31]
	v_mul_f64 v[124:125], v[78:79], s[40:41]
	;; [unrolled: 1-line block ×6, first 2 shown]
	v_fma_f64 v[14:15], v[74:75], s[28:29], v[151:152]
	v_mul_f64 v[221:222], v[82:83], s[16:17]
	v_fma_f64 v[16:17], v[84:85], s[28:29], -v[171:172]
	v_mul_f64 v[227:228], v[112:113], s[16:17]
	v_mul_f64 v[211:212], v[100:101], s[44:45]
	;; [unrolled: 1-line block ×5, first 2 shown]
	s_barrier
	v_add_f64 v[2:3], v[4:5], v[2:3]
	v_fma_f64 v[4:5], v[80:81], s[6:7], v[122:123]
	buffer_gl0_inv
	v_fma_f64 v[140:141], v[84:85], s[6:7], -v[225:226]
	v_add_f64 v[0:1], v[4:5], v[0:1]
	v_fma_f64 v[4:5], v[104:105], s[6:7], -v[134:135]
	v_add_f64 v[2:3], v[4:5], v[2:3]
	v_fma_f64 v[4:5], v[98:99], s[18:19], v[136:137]
	v_add_f64 v[0:1], v[4:5], v[0:1]
	v_fma_f64 v[4:5], v[106:107], s[18:19], -v[145:146]
	v_add_f64 v[2:3], v[4:5], v[2:3]
	v_fma_f64 v[4:5], v[94:95], s[28:29], v[142:143]
	v_add_f64 v[0:1], v[4:5], v[0:1]
	v_fma_f64 v[4:5], v[108:109], s[28:29], -v[157:158]
	v_add_f64 v[2:3], v[4:5], v[2:3]
	v_fma_f64 v[4:5], v[76:77], s[26:27], v[149:150]
	v_add_f64 v[0:1], v[4:5], v[0:1]
	v_fma_f64 v[4:5], v[86:87], s[26:27], -v[163:164]
	v_add_f64 v[2:3], v[4:5], v[2:3]
	v_fma_f64 v[4:5], v[88:89], s[4:5], v[219:220]
	v_add_f64 v[4:5], v[20:21], v[4:5]
	v_add_f64 v[4:5], v[6:7], v[4:5]
	v_fma_f64 v[6:7], v[126:127], s[4:5], -v[223:224]
	v_add_f64 v[6:7], v[22:23], v[6:7]
	v_add_f64 v[6:7], v[8:9], v[6:7]
	v_fma_f64 v[8:9], v[80:81], s[26:27], v[167:168]
	v_add_f64 v[4:5], v[8:9], v[4:5]
	v_fma_f64 v[8:9], v[104:105], s[26:27], -v[175:176]
	v_add_f64 v[6:7], v[8:9], v[6:7]
	v_fma_f64 v[8:9], v[98:99], s[28:29], v[173:174]
	v_add_f64 v[4:5], v[8:9], v[4:5]
	v_fma_f64 v[8:9], v[106:107], s[28:29], -v[185:186]
	v_add_f64 v[6:7], v[8:9], v[6:7]
	v_fma_f64 v[8:9], v[94:95], s[6:7], v[179:180]
	v_add_f64 v[4:5], v[8:9], v[4:5]
	v_fma_f64 v[8:9], v[108:109], s[6:7], -v[187:188]
	v_add_f64 v[6:7], v[8:9], v[6:7]
	v_fma_f64 v[8:9], v[76:77], s[10:11], v[181:182]
	v_add_f64 v[4:5], v[8:9], v[4:5]
	v_fma_f64 v[8:9], v[86:87], s[10:11], -v[189:190]
	v_add_f64 v[6:7], v[8:9], v[6:7]
	v_fma_f64 v[8:9], v[88:89], s[6:7], v[229:230]
	v_add_f64 v[8:9], v[20:21], v[8:9]
	v_add_f64 v[8:9], v[10:11], v[8:9]
	v_fma_f64 v[10:11], v[126:127], s[6:7], -v[231:232]
	v_add_f64 v[10:11], v[22:23], v[10:11]
	v_add_f64 v[10:11], v[12:13], v[10:11]
	v_fma_f64 v[12:13], v[80:81], s[18:19], v[191:192]
	;; [unrolled: 22-line block ×3, first 2 shown]
	v_add_f64 v[12:13], v[16:17], v[12:13]
	v_fma_f64 v[16:17], v[104:105], s[10:11], -v[177:178]
	v_add_f64 v[14:15], v[16:17], v[14:15]
	v_fma_f64 v[16:17], v[98:99], s[6:7], v[147:148]
	v_add_f64 v[12:13], v[16:17], v[12:13]
	v_fma_f64 v[16:17], v[106:107], s[6:7], -v[161:162]
	v_add_f64 v[14:15], v[16:17], v[14:15]
	v_fma_f64 v[16:17], v[94:95], s[26:27], v[138:139]
	;; [unrolled: 4-line block ×4, first 2 shown]
	v_fma_f64 v[14:15], v[74:75], s[6:7], v[215:216]
	v_add_f64 v[12:13], v[20:21], v[12:13]
	v_add_f64 v[12:13], v[14:15], v[12:13]
	v_fma_f64 v[14:15], v[126:127], s[28:29], -v[239:240]
	v_add_f64 v[14:15], v[22:23], v[14:15]
	v_add_f64 v[14:15], v[140:141], v[14:15]
	v_fma_f64 v[140:141], v[80:81], s[4:5], v[221:222]
	v_add_f64 v[12:13], v[140:141], v[12:13]
	v_fma_f64 v[140:141], v[104:105], s[4:5], -v[227:228]
	v_add_f64 v[14:15], v[140:141], v[14:15]
	v_fma_f64 v[140:141], v[98:99], s[26:27], v[211:212]
	v_add_f64 v[12:13], v[140:141], v[12:13]
	v_fma_f64 v[140:141], v[106:107], s[26:27], -v[217:218]
	;; [unrolled: 4-line block ×3, first 2 shown]
	v_add_f64 v[14:15], v[140:141], v[14:15]
	v_mul_f64 v[140:141], v[78:79], s[20:21]
	v_fma_f64 v[165:166], v[76:77], s[18:19], v[140:141]
	v_add_f64 v[12:13], v[165:166], v[12:13]
	v_mul_f64 v[165:166], v[118:119], s[20:21]
	v_fma_f64 v[242:243], v[86:87], s[18:19], -v[165:166]
	v_add_f64 v[14:15], v[242:243], v[14:15]
	v_mul_lo_u16 v242, v241, 13
	s_and_saveexec_b32 s33, vcc_lo
	s_cbranch_execz .LBB0_7
; %bb.6:
	v_add_f64 v[52:53], v[20:21], v[52:53]
	v_add_f64 v[54:55], v[22:23], v[54:55]
	v_mul_f64 v[100:101], v[100:101], s[40:41]
	v_mul_f64 v[72:73], v[72:73], s[34:35]
	;; [unrolled: 1-line block ×3, first 2 shown]
	v_add_f64 v[52:53], v[60:61], v[52:53]
	v_add_f64 v[54:55], v[62:63], v[54:55]
	v_mul_f64 v[60:61], v[106:107], s[18:19]
	v_mul_f64 v[62:63], v[98:99], s[18:19]
	v_add_f64 v[48:49], v[48:49], v[52:53]
	v_add_f64 v[50:51], v[50:51], v[54:55]
	v_mul_f64 v[54:55], v[88:89], s[10:11]
	v_add_f64 v[60:61], v[145:146], v[60:61]
	v_add_f64 v[62:63], v[62:63], -v[136:137]
	v_mul_f64 v[145:146], v[98:99], s[26:27]
	v_fma_f64 v[136:137], v[80:81], s[28:29], v[82:83]
	v_fma_f64 v[82:83], v[80:81], s[28:29], -v[82:83]
	v_add_f64 v[48:49], v[56:57], v[48:49]
	v_add_f64 v[50:51], v[58:59], v[50:51]
	v_add_f64 v[54:55], v[54:55], -v[110:111]
	v_mul_f64 v[110:111], v[106:107], s[4:5]
	v_add_f64 v[145:146], v[145:146], -v[211:212]
	v_add_f64 v[48:49], v[68:69], v[48:49]
	v_add_f64 v[50:51], v[70:71], v[50:51]
	v_mul_f64 v[68:69], v[86:87], s[28:29]
	v_mul_f64 v[70:71], v[76:77], s[28:29]
	v_add_f64 v[48:49], v[64:65], v[48:49]
	v_add_f64 v[50:51], v[66:67], v[50:51]
	v_mul_f64 v[64:65], v[108:109], s[28:29]
	v_mul_f64 v[66:67], v[94:95], s[4:5]
	v_add_f64 v[68:69], v[205:206], v[68:69]
	v_add_f64 v[70:71], v[70:71], -v[193:194]
	v_add_f64 v[44:45], v[44:45], v[48:49]
	v_add_f64 v[46:47], v[46:47], v[50:51]
	v_mul_f64 v[48:49], v[126:127], s[10:11]
	v_mul_f64 v[50:51], v[90:91], s[42:43]
	v_add_f64 v[64:65], v[157:158], v[64:65]
	v_add_f64 v[66:67], v[66:67], -v[199:200]
	v_add_f64 v[40:41], v[40:41], v[44:45]
	v_add_f64 v[42:43], v[42:43], v[46:47]
	v_mul_f64 v[44:45], v[126:127], s[4:5]
	v_mul_f64 v[46:47], v[88:89], s[4:5]
	v_add_f64 v[48:49], v[128:129], v[48:49]
	v_fma_f64 v[52:53], v[88:89], s[26:27], v[50:51]
	v_fma_f64 v[50:51], v[88:89], s[26:27], -v[50:51]
	v_mul_f64 v[128:129], v[80:81], s[4:5]
	v_add_f64 v[36:37], v[36:37], v[40:41]
	v_add_f64 v[38:39], v[38:39], v[42:43]
	v_mul_f64 v[40:41], v[126:127], s[6:7]
	v_add_f64 v[44:45], v[223:224], v[44:45]
	v_mul_f64 v[42:43], v[88:89], s[6:7]
	v_add_f64 v[46:47], v[46:47], -v[219:220]
	v_add_f64 v[52:53], v[20:21], v[52:53]
	v_add_f64 v[50:51], v[20:21], v[50:51]
	v_add_f64 v[128:129], v[128:129], -v[221:222]
	v_add_f64 v[32:33], v[32:33], v[36:37]
	v_add_f64 v[34:35], v[34:35], v[38:39]
	v_mul_f64 v[36:37], v[126:127], s[18:19]
	v_mul_f64 v[38:39], v[88:89], s[18:19]
	v_add_f64 v[40:41], v[231:232], v[40:41]
	v_add_f64 v[42:43], v[42:43], -v[229:230]
	v_add_f64 v[28:29], v[28:29], v[32:33]
	v_add_f64 v[30:31], v[30:31], v[34:35]
	v_mul_f64 v[32:33], v[126:127], s[28:29]
	v_mul_f64 v[34:35], v[88:89], s[28:29]
	v_add_f64 v[36:37], v[235:236], v[36:37]
	v_add_f64 v[38:39], v[38:39], -v[233:234]
	v_add_f64 v[40:41], v[22:23], v[40:41]
	v_add_f64 v[42:43], v[20:21], v[42:43]
	v_mul_f64 v[88:89], v[84:85], s[10:11]
	v_add_f64 v[24:25], v[24:25], v[28:29]
	v_mul_f64 v[28:29], v[126:127], s[26:27]
	v_add_f64 v[26:27], v[26:27], v[30:31]
	v_add_f64 v[32:33], v[239:240], v[32:33]
	v_add_f64 v[34:35], v[34:35], -v[237:238]
	v_add_f64 v[36:37], v[22:23], v[36:37]
	v_add_f64 v[38:39], v[20:21], v[38:39]
	v_fma_f64 v[90:91], v[92:93], s[8:9], v[88:89]
	v_fma_f64 v[88:89], v[92:93], s[34:35], v[88:89]
	v_mul_f64 v[92:93], v[104:105], s[28:29]
	v_fma_f64 v[30:31], v[132:133], s[44:45], v[28:29]
	v_fma_f64 v[28:29], v[132:133], s[42:43], v[28:29]
	v_add_f64 v[32:33], v[22:23], v[32:33]
	v_add_f64 v[34:35], v[20:21], v[34:35]
	v_mul_f64 v[132:133], v[74:75], s[6:7]
	v_add_f64 v[56:57], v[22:23], v[30:31]
	v_add_f64 v[58:59], v[22:23], v[28:29]
	;; [unrolled: 1-line block ×3, first 2 shown]
	v_mul_f64 v[44:45], v[84:85], s[4:5]
	v_add_f64 v[30:31], v[20:21], v[46:47]
	v_add_f64 v[22:23], v[22:23], v[48:49]
	v_mul_f64 v[46:47], v[74:75], s[4:5]
	v_mul_f64 v[48:49], v[104:105], s[6:7]
	v_add_f64 v[20:21], v[20:21], v[54:55]
	v_mul_f64 v[54:55], v[80:81], s[6:7]
	v_add_f64 v[132:133], v[132:133], -v[215:216]
	v_add_f64 v[44:45], v[120:121], v[44:45]
	v_add_f64 v[46:47], v[46:47], -v[102:103]
	v_add_f64 v[48:49], v[134:135], v[48:49]
	v_fma_f64 v[102:103], v[112:113], s[36:37], v[92:93]
	v_add_f64 v[54:55], v[54:55], -v[122:123]
	v_fma_f64 v[92:93], v[112:113], s[30:31], v[92:93]
	v_fma_f64 v[112:113], v[114:115], s[16:17], v[110:111]
	;; [unrolled: 1-line block ×3, first 2 shown]
	v_mul_f64 v[114:115], v[108:109], s[18:19]
	v_mul_f64 v[122:123], v[86:87], s[6:7]
	v_fma_f64 v[134:135], v[74:75], s[10:11], v[72:73]
	v_fma_f64 v[72:73], v[74:75], s[10:11], -v[72:73]
	v_add_f64 v[34:35], v[132:133], v[34:35]
	v_add_f64 v[22:23], v[44:45], v[22:23]
	v_mul_f64 v[44:45], v[94:95], s[28:29]
	v_add_f64 v[20:21], v[46:47], v[20:21]
	v_mul_f64 v[46:47], v[86:87], s[26:27]
	v_fma_f64 v[120:121], v[116:117], s[38:39], v[114:115]
	v_fma_f64 v[114:115], v[116:117], s[20:21], v[114:115]
	v_mul_f64 v[116:117], v[84:85], s[6:7]
	v_fma_f64 v[126:127], v[118:119], s[22:23], v[122:123]
	v_fma_f64 v[118:119], v[118:119], s[24:25], v[122:123]
	v_mul_f64 v[122:123], v[104:105], s[4:5]
	v_add_f64 v[50:51], v[72:73], v[50:51]
	v_add_f64 v[52:53], v[134:135], v[52:53]
	;; [unrolled: 1-line block ×4, first 2 shown]
	v_add_f64 v[44:45], v[44:45], -v[142:143]
	v_mul_f64 v[48:49], v[76:77], s[26:27]
	v_add_f64 v[20:21], v[54:55], v[20:21]
	v_add_f64 v[46:47], v[163:164], v[46:47]
	v_mul_f64 v[54:55], v[80:81], s[26:27]
	v_mul_f64 v[142:143], v[106:107], s[26:27]
	v_add_f64 v[116:117], v[225:226], v[116:117]
	v_add_f64 v[122:123], v[227:228], v[122:123]
	;; [unrolled: 1-line block ×6, first 2 shown]
	v_mul_f64 v[60:61], v[106:107], s[28:29]
	v_add_f64 v[48:49], v[48:49], -v[149:150]
	v_add_f64 v[20:21], v[62:63], v[20:21]
	v_mul_f64 v[62:63], v[98:99], s[28:29]
	v_add_f64 v[54:55], v[54:55], -v[167:168]
	v_fma_f64 v[149:150], v[98:99], s[4:5], v[100:101]
	v_fma_f64 v[100:101], v[98:99], s[4:5], -v[100:101]
	v_add_f64 v[142:143], v[217:218], v[142:143]
	v_add_f64 v[32:33], v[116:117], v[32:33]
	;; [unrolled: 1-line block ×4, first 2 shown]
	v_mul_f64 v[64:65], v[108:109], s[6:7]
	v_add_f64 v[20:21], v[44:45], v[20:21]
	v_mul_f64 v[44:45], v[84:85], s[18:19]
	v_add_f64 v[62:63], v[62:63], -v[173:174]
	v_add_f64 v[52:53], v[149:150], v[52:53]
	v_add_f64 v[50:51], v[100:101], v[50:51]
	;; [unrolled: 1-line block ×4, first 2 shown]
	v_mul_f64 v[46:47], v[74:75], s[18:19]
	v_add_f64 v[64:65], v[187:188], v[64:65]
	v_add_f64 v[20:21], v[48:49], v[20:21]
	;; [unrolled: 1-line block ×3, first 2 shown]
	v_mul_f64 v[48:49], v[104:105], s[26:27]
	v_add_f64 v[32:33], v[142:143], v[32:33]
	v_add_f64 v[46:47], v[46:47], -v[159:160]
	v_add_f64 v[28:29], v[44:45], v[28:29]
	v_add_f64 v[48:49], v[175:176], v[48:49]
	v_mul_f64 v[44:45], v[94:95], s[6:7]
	v_add_f64 v[30:31], v[46:47], v[30:31]
	v_mul_f64 v[46:47], v[86:87], s[10:11]
	v_add_f64 v[28:29], v[48:49], v[28:29]
	v_add_f64 v[44:45], v[44:45], -v[179:180]
	v_mul_f64 v[48:49], v[76:77], s[10:11]
	v_add_f64 v[30:31], v[54:55], v[30:31]
	v_add_f64 v[46:47], v[189:190], v[46:47]
	v_mul_f64 v[54:55], v[80:81], s[18:19]
	v_mul_f64 v[80:81], v[80:81], s[10:11]
	v_add_f64 v[28:29], v[60:61], v[28:29]
	v_mul_f64 v[60:61], v[106:107], s[10:11]
	v_add_f64 v[48:49], v[48:49], -v[181:182]
	v_mul_f64 v[106:107], v[106:107], s[6:7]
	v_add_f64 v[30:31], v[62:63], v[30:31]
	v_mul_f64 v[62:63], v[98:99], s[10:11]
	v_mul_f64 v[98:99], v[98:99], s[6:7]
	v_add_f64 v[54:55], v[54:55], -v[191:192]
	v_add_f64 v[28:29], v[64:65], v[28:29]
	v_add_f64 v[60:61], v[203:204], v[60:61]
	v_mul_f64 v[64:65], v[108:109], s[4:5]
	v_add_f64 v[80:81], v[80:81], -v[155:156]
	v_add_f64 v[106:107], v[161:162], v[106:107]
	v_add_f64 v[44:45], v[44:45], v[30:31]
	v_add_f64 v[62:63], v[62:63], -v[197:198]
	v_add_f64 v[98:99], v[98:99], -v[147:148]
	v_mul_f64 v[147:148], v[108:109], s[10:11]
	v_add_f64 v[30:31], v[46:47], v[28:29]
	v_mul_f64 v[46:47], v[74:75], s[26:27]
	v_mul_f64 v[74:75], v[74:75], s[28:29]
	v_add_f64 v[64:65], v[207:208], v[64:65]
	v_mul_f64 v[108:109], v[108:109], s[26:27]
	v_add_f64 v[28:29], v[48:49], v[44:45]
	v_mul_f64 v[44:45], v[84:85], s[26:27]
	v_mul_f64 v[48:49], v[104:105], s[18:19]
	;; [unrolled: 1-line block ×4, first 2 shown]
	v_add_f64 v[46:47], v[46:47], -v[183:184]
	v_add_f64 v[74:75], v[74:75], -v[151:152]
	v_add_f64 v[147:148], v[213:214], v[147:148]
	v_mul_f64 v[151:152], v[94:95], s[10:11]
	v_add_f64 v[108:109], v[153:154], v[108:109]
	v_add_f64 v[44:45], v[195:196], v[44:45]
	;; [unrolled: 1-line block ×8, first 2 shown]
	v_mul_f64 v[88:89], v[94:95], s[26:27]
	v_add_f64 v[151:152], v[151:152], -v[209:210]
	v_add_f64 v[40:41], v[44:45], v[40:41]
	v_add_f64 v[44:45], v[90:91], v[56:57]
	;; [unrolled: 1-line block ×3, first 2 shown]
	v_mul_f64 v[56:57], v[96:97], s[20:21]
	v_add_f64 v[42:43], v[54:55], v[42:43]
	v_add_f64 v[46:47], v[92:93], v[46:47]
	;; [unrolled: 1-line block ×3, first 2 shown]
	v_add_f64 v[88:89], v[88:89], -v[138:139]
	v_mul_f64 v[54:55], v[76:77], s[18:19]
	v_add_f64 v[40:41], v[48:49], v[40:41]
	v_add_f64 v[44:45], v[102:103], v[44:45]
	;; [unrolled: 1-line block ×3, first 2 shown]
	v_mul_f64 v[48:49], v[86:87], s[18:19]
	v_add_f64 v[42:43], v[62:63], v[42:43]
	v_add_f64 v[46:47], v[110:111], v[46:47]
	;; [unrolled: 1-line block ×3, first 2 shown]
	v_fma_f64 v[58:59], v[94:95], s[18:19], v[56:57]
	v_fma_f64 v[56:57], v[94:95], s[18:19], -v[56:57]
	v_add_f64 v[54:55], v[54:55], -v[140:141]
	v_add_f64 v[40:41], v[60:61], v[40:41]
	v_add_f64 v[60:61], v[147:148], v[32:33]
	v_mul_f64 v[32:33], v[86:87], s[4:5]
	v_add_f64 v[36:37], v[106:107], v[36:37]
	v_add_f64 v[42:43], v[66:67], v[42:43]
	v_add_f64 v[44:45], v[112:113], v[44:45]
	v_add_f64 v[48:49], v[165:166], v[48:49]
	v_add_f64 v[46:47], v[114:115], v[46:47]
	v_add_f64 v[74:75], v[88:89], v[38:39]
	v_add_f64 v[56:57], v[56:57], v[50:51]
	v_add_f64 v[52:53], v[58:59], v[52:53]
	v_add_f64 v[40:41], v[64:65], v[40:41]
	v_add_f64 v[62:63], v[130:131], v[32:33]
	v_mul_f64 v[32:33], v[78:79], s[24:25]
	v_add_f64 v[36:37], v[108:109], v[36:37]
	v_add_f64 v[44:45], v[120:121], v[44:45]
	v_fma_f64 v[64:65], v[76:77], s[6:7], v[32:33]
	v_fma_f64 v[66:67], v[76:77], s[6:7], -v[32:33]
	v_mul_f64 v[32:33], v[76:77], s[4:5]
	v_add_f64 v[76:77], v[151:152], v[34:35]
	v_add_f64 v[34:35], v[68:69], v[40:41]
	;; [unrolled: 1-line block ×6, first 2 shown]
	v_add_f64 v[72:73], v[32:33], -v[124:125]
	v_add_f64 v[32:33], v[70:71], v[42:43]
	v_add_f64 v[42:43], v[118:119], v[46:47]
	;; [unrolled: 1-line block ×4, first 2 shown]
	v_mov_b32_e32 v52, 4
	v_lshlrev_b32_sdwa v52, v52, v242 dst_sel:DWORD dst_unused:UNUSED_PAD src0_sel:DWORD src1_sel:WORD_0
	v_add_f64 v[48:49], v[72:73], v[74:75]
	ds_write_b128 v52, v[24:27]
	ds_write_b128 v52, v[20:23] offset:16
	ds_write_b128 v52, v[28:31] offset:32
	;; [unrolled: 1-line block ×12, first 2 shown]
.LBB0_7:
	s_or_b32 exec_lo, exec_lo, s33
	v_and_b32_e32 v20, 0xff, v241
	v_add_nc_u32_e32 v76, 0x1a0, v241
	v_mov_b32_e32 v21, 0x4ec5
	v_add_co_u32 v52, null, 0xd0, v241
	v_mul_lo_u16 v54, 0x4f, v20
	v_add_nc_u32_e32 v77, 0x270, v241
	v_mul_u32_u24_sdwa v80, v76, v21 dst_sel:DWORD dst_unused:UNUSED_PAD src0_sel:WORD_0 src1_sel:DWORD
	v_mul_u32_u24_sdwa v53, v52, v21 dst_sel:DWORD dst_unused:UNUSED_PAD src0_sel:WORD_0 src1_sel:DWORD
	v_mov_b32_e32 v78, 4
	v_lshrrev_b16 v75, 10, v54
	v_mul_u32_u24_sdwa v79, v77, v21 dst_sel:DWORD dst_unused:UNUSED_PAD src0_sel:WORD_0 src1_sel:DWORD
	v_lshrrev_b32_e32 v85, 18, v80
	v_lshrrev_b32_e32 v86, 18, v53
	s_load_dwordx4 s[4:7], s[0:1], 0x0
	v_mul_lo_u16 v20, v75, 13
	v_lshrrev_b32_e32 v87, 18, v79
	v_mul_lo_u16 v21, v85, 13
	v_mul_lo_u16 v22, v86, 13
	s_waitcnt lgkmcnt(0)
	v_sub_nc_u16 v20, v241, v20
	v_mul_lo_u16 v23, v87, 13
	v_sub_nc_u16 v88, v76, v21
	v_sub_nc_u16 v90, v52, v22
	s_barrier
	v_and_b32_e32 v89, 0xff, v20
	v_sub_nc_u16 v91, v77, v23
	v_lshlrev_b32_sdwa v20, v78, v88 dst_sel:DWORD dst_unused:UNUSED_PAD src0_sel:DWORD src1_sel:WORD_0
	v_lshlrev_b32_sdwa v25, v78, v90 dst_sel:DWORD dst_unused:UNUSED_PAD src0_sel:DWORD src1_sel:WORD_0
	buffer_gl0_inv
	v_lshlrev_b32_e32 v24, 4, v89
	v_lshlrev_b32_sdwa v26, v78, v91 dst_sel:DWORD dst_unused:UNUSED_PAD src0_sel:DWORD src1_sel:WORD_0
	v_lshlrev_b32_sdwa v145, v78, v241 dst_sel:DWORD dst_unused:UNUSED_PAD src0_sel:DWORD src1_sel:WORD_0
	v_lshrrev_b16 v101, 11, v54
	s_clause 0x3
	global_load_dwordx4 v[20:23], v20, s[2:3]
	global_load_dwordx4 v[228:231], v24, s[2:3]
	;; [unrolled: 1-line block ×4, first 2 shown]
	ds_read_b128 v[36:39], v145 offset:19968
	ds_read_b128 v[40:43], v145 offset:13312
	;; [unrolled: 1-line block ×4, first 2 shown]
	ds_read_b128 v[55:58], v145
	ds_read_b128 v[59:62], v145 offset:3328
	v_lshrrev_b32_e32 v102, 19, v53
	v_lshrrev_b32_e32 v103, 19, v80
	;; [unrolled: 1-line block ×3, first 2 shown]
	v_lshrrev_b16 v137, 12, v54
	v_lshrrev_b32_e32 v138, 20, v53
	v_mov_b32_e32 v53, 52
	v_lshrrev_b32_e32 v80, 22, v80
	v_lshrrev_b32_e32 v79, 22, v79
	v_mul_lo_u16 v54, v137, 52
	s_waitcnt vmcnt(3) lgkmcnt(5)
	v_mul_f64 v[63:64], v[38:39], v[22:23]
	s_waitcnt vmcnt(2) lgkmcnt(4)
	v_mul_f64 v[65:66], v[42:43], v[230:231]
	v_mul_f64 v[67:68], v[40:41], v[230:231]
	s_waitcnt vmcnt(1) lgkmcnt(3)
	v_mul_f64 v[69:70], v[46:47], v[154:155]
	v_mul_f64 v[71:72], v[44:45], v[154:155]
	;; [unrolled: 1-line block ×3, first 2 shown]
	s_waitcnt vmcnt(0) lgkmcnt(2)
	v_mul_f64 v[81:82], v[50:51], v[150:151]
	v_mul_f64 v[83:84], v[48:49], v[150:151]
	v_fma_f64 v[63:64], v[36:37], v[20:21], -v[63:64]
	v_fma_f64 v[65:66], v[40:41], v[228:229], -v[65:66]
	v_fma_f64 v[67:68], v[42:43], v[228:229], v[67:68]
	v_fma_f64 v[69:70], v[44:45], v[152:153], -v[69:70]
	v_fma_f64 v[71:72], v[46:47], v[152:153], v[71:72]
	v_fma_f64 v[73:74], v[38:39], v[20:21], v[73:74]
	v_fma_f64 v[81:82], v[48:49], v[148:149], -v[81:82]
	ds_read_b128 v[36:39], v145 offset:6656
	ds_read_b128 v[40:43], v145 offset:9984
	v_fma_f64 v[83:84], v[50:51], v[148:149], v[83:84]
	s_waitcnt lgkmcnt(0)
	s_barrier
	buffer_gl0_inv
	v_add_f64 v[44:45], v[55:56], -v[65:66]
	v_add_f64 v[46:47], v[57:58], -v[67:68]
	;; [unrolled: 1-line block ×7, first 2 shown]
	v_mul_lo_u16 v72, v101, 26
	v_add_f64 v[69:70], v[42:43], -v[83:84]
	v_mov_b32_e32 v71, 26
	v_mul_lo_u16 v73, v102, 26
	v_mul_lo_u16 v74, v103, 26
	v_sub_nc_u16 v72, v241, v72
	v_mad_u16 v81, v87, 26, v91
	v_mul_u32_u24_sdwa v71, v75, v71 dst_sel:DWORD dst_unused:UNUSED_PAD src0_sel:WORD_0 src1_sel:DWORD
	v_mul_lo_u16 v75, v104, 26
	v_sub_nc_u16 v105, v52, v73
	v_mad_u16 v73, v86, 26, v90
	v_and_b32_e32 v107, 0xff, v72
	v_sub_nc_u16 v106, v76, v74
	v_mad_u16 v74, v85, 26, v88
	v_sub_nc_u16 v75, v77, v75
	v_fma_f64 v[55:56], v[55:56], 2.0, -v[44:45]
	v_fma_f64 v[57:58], v[57:58], 2.0, -v[46:47]
	;; [unrolled: 1-line block ×7, first 2 shown]
	v_add_lshl_u32 v243, v71, v89, 4
	v_fma_f64 v[42:43], v[42:43], 2.0, -v[69:70]
	v_lshlrev_b32_sdwa v240, v78, v73 dst_sel:DWORD dst_unused:UNUSED_PAD src0_sel:DWORD src1_sel:WORD_0
	v_lshlrev_b32_e32 v71, 4, v107
	v_lshlrev_b32_sdwa v72, v78, v105 dst_sel:DWORD dst_unused:UNUSED_PAD src0_sel:DWORD src1_sel:WORD_0
	v_lshlrev_b32_sdwa v82, v78, v106 dst_sel:DWORD dst_unused:UNUSED_PAD src0_sel:DWORD src1_sel:WORD_0
	;; [unrolled: 1-line block ×4, first 2 shown]
	ds_write_b128 v243, v[44:47] offset:208
	ds_write_b128 v243, v[55:58]
	ds_write_b128 v240, v[59:62]
	ds_write_b128 v240, v[48:51] offset:208
	ds_write_b128 v157, v[36:39]
	ds_write_b128 v157, v[63:66] offset:208
	ds_write_b128 v156, v[40:43]
	ds_write_b128 v156, v[67:70] offset:208
	v_lshlrev_b32_sdwa v36, v78, v75 dst_sel:DWORD dst_unused:UNUSED_PAD src0_sel:DWORD src1_sel:WORD_0
	s_waitcnt lgkmcnt(0)
	s_barrier
	buffer_gl0_inv
	s_clause 0x3
	global_load_dwordx4 v[44:47], v71, s[2:3] offset:208
	global_load_dwordx4 v[48:51], v72, s[2:3] offset:208
	;; [unrolled: 1-line block ×4, first 2 shown]
	ds_read_b128 v[55:58], v145 offset:13312
	ds_read_b128 v[59:62], v145 offset:16640
	;; [unrolled: 1-line block ×4, first 2 shown]
	ds_read_b128 v[71:74], v145
	ds_read_b128 v[81:84], v145 offset:3328
	s_waitcnt vmcnt(2) lgkmcnt(4)
	v_mul_f64 v[89:90], v[61:62], v[50:51]
	v_mul_f64 v[85:86], v[57:58], v[46:47]
	;; [unrolled: 1-line block ×4, first 2 shown]
	s_waitcnt vmcnt(1) lgkmcnt(3)
	v_mul_f64 v[93:94], v[65:66], v[238:239]
	v_mul_f64 v[95:96], v[63:64], v[238:239]
	s_waitcnt vmcnt(0) lgkmcnt(2)
	v_mul_f64 v[97:98], v[69:70], v[234:235]
	v_mul_f64 v[99:100], v[67:68], v[234:235]
	v_fma_f64 v[89:90], v[59:60], v[48:49], -v[89:90]
	v_fma_f64 v[85:86], v[55:56], v[44:45], -v[85:86]
	v_fma_f64 v[87:88], v[57:58], v[44:45], v[87:88]
	v_fma_f64 v[91:92], v[61:62], v[48:49], v[91:92]
	v_fma_f64 v[93:94], v[63:64], v[236:237], -v[93:94]
	v_fma_f64 v[95:96], v[65:66], v[236:237], v[95:96]
	v_fma_f64 v[97:98], v[67:68], v[232:233], -v[97:98]
	v_fma_f64 v[99:100], v[69:70], v[232:233], v[99:100]
	ds_read_b128 v[55:58], v145 offset:6656
	ds_read_b128 v[59:62], v145 offset:9984
	s_waitcnt lgkmcnt(0)
	s_barrier
	buffer_gl0_inv
	v_add_f64 v[67:68], v[81:82], -v[89:90]
	v_add_f64 v[63:64], v[71:72], -v[85:86]
	v_add_f64 v[65:66], v[73:74], -v[87:88]
	v_add_f64 v[69:70], v[83:84], -v[91:92]
	v_add_f64 v[85:86], v[55:56], -v[93:94]
	v_add_f64 v[87:88], v[57:58], -v[95:96]
	v_add_f64 v[89:90], v[59:60], -v[97:98]
	v_add_f64 v[91:92], v[61:62], -v[99:100]
	v_mul_lo_u16 v93, v138, 52
	v_mul_u32_u24_sdwa v94, v101, v53 dst_sel:DWORD dst_unused:UNUSED_PAD src0_sel:WORD_0 src1_sel:DWORD
	v_sub_nc_u16 v95, v241, v54
	v_sub_nc_u16 v139, v52, v93
	v_add_lshl_u32 v27, v94, v107, 4
	v_and_b32_e32 v140, 0xff, v95
	buffer_store_dword v27, off, s[48:51], 0 offset:44 ; 4-byte Folded Spill
	v_fma_f64 v[81:82], v[81:82], 2.0, -v[67:68]
	v_fma_f64 v[71:72], v[71:72], 2.0, -v[63:64]
	;; [unrolled: 1-line block ×4, first 2 shown]
	v_mad_u64_u32 v[93:94], null, v140, 48, s[2:3]
	v_fma_f64 v[52:53], v[55:56], 2.0, -v[85:86]
	v_fma_f64 v[54:55], v[57:58], 2.0, -v[87:88]
	;; [unrolled: 1-line block ×4, first 2 shown]
	v_mad_u16 v60, v102, 52, v105
	v_mad_u16 v62, v104, 52, v75
	v_mul_lo_u16 v75, v139, 48
	v_mad_u16 v61, v103, 52, v106
	ds_write_b128 v27, v[63:66] offset:416
	v_lshlrev_b32_sdwa v26, v78, v60 dst_sel:DWORD dst_unused:UNUSED_PAD src0_sel:DWORD src1_sel:WORD_0
	v_lshlrev_b32_sdwa v24, v78, v62 dst_sel:DWORD dst_unused:UNUSED_PAD src0_sel:DWORD src1_sel:WORD_0
	v_and_b32_e32 v60, 0xffff, v75
	v_lshlrev_b32_sdwa v25, v78, v61 dst_sel:DWORD dst_unused:UNUSED_PAD src0_sel:DWORD src1_sel:WORD_0
	ds_write_b128 v27, v[71:74]
	ds_write_b128 v26, v[81:84]
	v_add_co_u32 v64, s0, s2, v60
	buffer_store_dword v26, off, s[48:51], 0 offset:40 ; 4-byte Folded Spill
	ds_write_b128 v26, v[67:70] offset:416
	ds_write_b128 v25, v[52:55]
	buffer_store_dword v25, off, s[48:51], 0 offset:36 ; 4-byte Folded Spill
	ds_write_b128 v25, v[85:88] offset:416
	ds_write_b128 v24, v[56:59]
	buffer_store_dword v24, off, s[48:51], 0 offset:32 ; 4-byte Folded Spill
	ds_write_b128 v24, v[89:92] offset:416
	s_waitcnt lgkmcnt(0)
	s_waitcnt_vscnt null, 0x0
	s_barrier
	buffer_gl0_inv
	global_load_dwordx4 v[28:31], v[93:94], off offset:624
	v_add_co_ci_u32_e64 v65, null, s3, 0, s0
	s_clause 0x4
	global_load_dwordx4 v[60:63], v[93:94], off offset:640
	global_load_dwordx4 v[24:27], v[93:94], off offset:656
	;; [unrolled: 1-line block ×5, first 2 shown]
	ds_read_b128 v[81:84], v145 offset:6656
	ds_read_b128 v[85:88], v145 offset:13312
	;; [unrolled: 1-line block ×6, first 2 shown]
	ds_read_b128 v[105:108], v145
	ds_read_b128 v[109:112], v145 offset:3328
	s_waitcnt vmcnt(4) lgkmcnt(6)
	v_mul_f64 v[117:118], v[87:88], v[62:63]
	v_mul_f64 v[113:114], v[83:84], v[30:31]
	s_waitcnt vmcnt(3) lgkmcnt(5)
	v_mul_f64 v[121:122], v[91:92], v[26:27]
	v_mul_f64 v[115:116], v[81:82], v[30:31]
	;; [unrolled: 1-line block ×4, first 2 shown]
	s_waitcnt vmcnt(2) lgkmcnt(4)
	v_mul_f64 v[125:126], v[95:96], v[74:75]
	v_mul_f64 v[127:128], v[93:94], v[74:75]
	s_waitcnt vmcnt(1) lgkmcnt(3)
	v_mul_f64 v[129:130], v[99:100], v[70:71]
	v_mul_f64 v[131:132], v[97:98], v[70:71]
	;; [unrolled: 3-line block ×3, first 2 shown]
	v_fma_f64 v[85:86], v[85:86], v[60:61], -v[117:118]
	v_fma_f64 v[81:82], v[81:82], v[28:29], -v[113:114]
	buffer_store_dword v28, off, s[48:51], 0 offset:16 ; 4-byte Folded Spill
	buffer_store_dword v29, off, s[48:51], 0 offset:20 ; 4-byte Folded Spill
	;; [unrolled: 1-line block ×4, first 2 shown]
	v_fma_f64 v[89:90], v[89:90], v[24:25], -v[121:122]
	buffer_store_dword v24, off, s[48:51], 0 ; 4-byte Folded Spill
	buffer_store_dword v25, off, s[48:51], 0 offset:4 ; 4-byte Folded Spill
	buffer_store_dword v26, off, s[48:51], 0 offset:8 ; 4-byte Folded Spill
	;; [unrolled: 1-line block ×3, first 2 shown]
	v_fma_f64 v[87:88], v[87:88], v[60:61], v[119:120]
	v_fma_f64 v[93:94], v[93:94], v[72:73], -v[125:126]
	v_fma_f64 v[95:96], v[95:96], v[72:73], v[127:128]
	v_fma_f64 v[97:98], v[97:98], v[68:69], -v[129:130]
	;; [unrolled: 2-line block ×3, first 2 shown]
	v_fma_f64 v[103:104], v[103:104], v[64:65], v[135:136]
	s_waitcnt lgkmcnt(0)
	s_waitcnt_vscnt null, 0x0
	s_barrier
	buffer_gl0_inv
	v_add_f64 v[113:114], v[105:106], -v[85:86]
	v_add_f64 v[85:86], v[81:82], -v[89:90]
	;; [unrolled: 1-line block ×5, first 2 shown]
	v_mov_b32_e32 v102, 0xd0
	v_lshlrev_b32_e32 v101, 4, v241
	v_fma_f64 v[97:98], v[81:82], 2.0, -v[85:86]
	v_fma_f64 v[125:126], v[111:112], 2.0, -v[119:120]
	;; [unrolled: 1-line block ×3, first 2 shown]
	v_fma_f64 v[83:84], v[83:84], v[28:29], v[115:116]
	v_add_f64 v[115:116], v[107:108], -v[87:88]
	v_fma_f64 v[91:92], v[91:92], v[24:25], v[123:124]
	v_fma_f64 v[123:124], v[109:110], 2.0, -v[117:118]
	v_fma_f64 v[121:122], v[107:108], 2.0, -v[115:116]
	v_add_f64 v[87:88], v[83:84], -v[91:92]
	v_add_f64 v[91:92], v[95:96], -v[103:104]
	v_fma_f64 v[104:105], v[105:106], 2.0, -v[113:114]
	v_mul_lo_u16 v103, 0xd0, v80
	v_mul_lo_u16 v106, 0xd0, v79
	v_add_f64 v[81:82], v[115:116], v[85:86]
	v_add_f64 v[85:86], v[119:120], v[89:90]
	v_fma_f64 v[99:100], v[83:84], 2.0, -v[87:88]
	v_fma_f64 v[95:96], v[95:96], 2.0, -v[91:92]
	v_add_f64 v[79:80], v[113:114], -v[87:88]
	v_add_f64 v[87:88], v[104:105], -v[97:98]
	v_add_f64 v[83:84], v[117:118], -v[91:92]
	v_add_f64 v[91:92], v[123:124], -v[93:94]
	v_sub_nc_u16 v97, v77, v106
	v_lshlrev_b32_sdwa v57, v78, v97 dst_sel:DWORD dst_unused:UNUSED_PAD src0_sel:DWORD src1_sel:WORD_0
	v_fma_f64 v[97:98], v[115:116], 2.0, -v[81:82]
	v_add_f64 v[89:90], v[121:122], -v[99:100]
	v_add_f64 v[93:94], v[125:126], -v[95:96]
	v_mul_u32_u24_sdwa v95, v137, v102 dst_sel:DWORD dst_unused:UNUSED_PAD src0_sel:WORD_0 src1_sel:DWORD
	v_sub_nc_u16 v96, v76, v103
	v_fma_f64 v[106:107], v[104:105], 2.0, -v[87:88]
	v_fma_f64 v[110:111], v[123:124], 2.0, -v[91:92]
	;; [unrolled: 1-line block ×3, first 2 shown]
	v_add_lshl_u32 v25, v95, v140, 4
	v_lshlrev_b32_sdwa v56, v78, v96 dst_sel:DWORD dst_unused:UNUSED_PAD src0_sel:DWORD src1_sel:WORD_0
	v_fma_f64 v[95:96], v[113:114], 2.0, -v[79:80]
	v_fma_f64 v[104:105], v[119:120], 2.0, -v[85:86]
	v_add_co_u32 v100, s0, s2, v101
	v_add_co_ci_u32_e64 v101, null, s3, 0, s0
	v_mad_u16 v99, 0xd0, v138, v139
	v_add_co_u32 v76, s0, 0x800, v100
	v_add_co_ci_u32_e64 v77, s0, 0, v101, s0
	v_lshlrev_b32_sdwa v24, v78, v99 dst_sel:DWORD dst_unused:UNUSED_PAD src0_sel:DWORD src1_sel:WORD_0
	v_add_co_u32 v78, s0, s2, v56
	v_fma_f64 v[108:109], v[121:122], 2.0, -v[89:90]
	v_fma_f64 v[112:113], v[125:126], 2.0, -v[93:94]
	v_add_co_ci_u32_e64 v99, null, s3, 0, s0
	v_add_co_u32 v116, s0, s2, v57
	v_add_co_ci_u32_e64 v117, null, s3, 0, s0
	v_add_co_u32 v114, s0, 0x800, v78
	v_add_co_ci_u32_e64 v115, s0, 0, v99, s0
	ds_write_b128 v25, v[79:82] offset:2496
	ds_write_b128 v25, v[95:98] offset:832
	;; [unrolled: 1-line block ×3, first 2 shown]
	buffer_store_dword v25, off, s[48:51], 0 offset:52 ; 4-byte Folded Spill
	ds_write_b128 v25, v[106:109]
	ds_write_b128 v24, v[110:113]
	ds_write_b128 v24, v[102:105] offset:832
	ds_write_b128 v24, v[91:94] offset:1664
	;; [unrolled: 1-line block ×3, first 2 shown]
	v_add_co_u32 v84, s0, 0x800, v116
	v_add_co_ci_u32_e64 v85, s0, 0, v117, s0
	buffer_store_dword v24, off, s[48:51], 0 offset:48 ; 4-byte Folded Spill
	s_waitcnt lgkmcnt(0)
	s_waitcnt_vscnt null, 0x0
	s_barrier
	buffer_gl0_inv
	s_clause 0x2
	global_load_dwordx4 v[76:79], v[76:77], off offset:1072
	global_load_dwordx4 v[80:83], v[114:115], off offset:1072
	;; [unrolled: 1-line block ×3, first 2 shown]
	ds_read_b128 v[88:91], v145 offset:13312
	ds_read_b128 v[92:95], v145 offset:16640
	;; [unrolled: 1-line block ×4, first 2 shown]
	ds_read_b128 v[106:109], v145
	ds_read_b128 v[110:113], v145 offset:3328
	s_waitcnt vmcnt(2) lgkmcnt(5)
	v_mul_f64 v[114:115], v[90:91], v[78:79]
	v_mul_f64 v[116:117], v[88:89], v[78:79]
	s_waitcnt lgkmcnt(4)
	v_mul_f64 v[118:119], v[94:95], v[78:79]
	v_mul_f64 v[120:121], v[92:93], v[78:79]
	s_waitcnt vmcnt(1) lgkmcnt(3)
	v_mul_f64 v[122:123], v[98:99], v[82:83]
	v_mul_f64 v[124:125], v[96:97], v[82:83]
	s_waitcnt vmcnt(0) lgkmcnt(2)
	v_mul_f64 v[126:127], v[104:105], v[86:87]
	v_mul_f64 v[128:129], v[102:103], v[86:87]
	v_fma_f64 v[114:115], v[88:89], v[76:77], -v[114:115]
	v_fma_f64 v[116:117], v[90:91], v[76:77], v[116:117]
	v_fma_f64 v[118:119], v[92:93], v[76:77], -v[118:119]
	v_fma_f64 v[120:121], v[94:95], v[76:77], v[120:121]
	;; [unrolled: 2-line block ×3, first 2 shown]
	v_fma_f64 v[126:127], v[102:103], v[84:85], -v[126:127]
	ds_read_b128 v[88:91], v145 offset:6656
	ds_read_b128 v[92:95], v145 offset:9984
	v_fma_f64 v[128:129], v[104:105], v[84:85], v[128:129]
	s_waitcnt lgkmcnt(0)
	s_barrier
	buffer_gl0_inv
	v_add_f64 v[96:97], v[106:107], -v[114:115]
	v_add_f64 v[98:99], v[108:109], -v[116:117]
	v_add_f64 v[102:103], v[110:111], -v[118:119]
	v_add_f64 v[104:105], v[112:113], -v[120:121]
	v_add_f64 v[114:115], v[88:89], -v[122:123]
	v_add_f64 v[116:117], v[90:91], -v[124:125]
	v_add_f64 v[118:119], v[92:93], -v[126:127]
	v_add_co_u32 v122, s0, 0x1800, v100
	v_add_f64 v[120:121], v[94:95], -v[128:129]
	v_add_co_ci_u32_e64 v123, s0, 0, v101, s0
	v_add_co_u32 v124, s0, 0x2000, v100
	v_add_co_ci_u32_e64 v125, s0, 0, v101, s0
	v_fma_f64 v[106:107], v[106:107], 2.0, -v[96:97]
	v_fma_f64 v[108:109], v[108:109], 2.0, -v[98:99]
	v_fma_f64 v[110:111], v[110:111], 2.0, -v[102:103]
	v_fma_f64 v[112:113], v[112:113], 2.0, -v[104:105]
	v_fma_f64 v[88:89], v[88:89], 2.0, -v[114:115]
	v_fma_f64 v[90:91], v[90:91], 2.0, -v[116:117]
	v_fma_f64 v[92:93], v[92:93], 2.0, -v[118:119]
	v_fma_f64 v[94:95], v[94:95], 2.0, -v[120:121]
	ds_write_b128 v145, v[96:99] offset:3328
	ds_write_b128 v145, v[102:105] offset:9984
	ds_write_b128 v145, v[106:109]
	ds_write_b128 v145, v[110:113] offset:6656
	ds_write_b128 v56, v[88:91] offset:13312
	ds_write_b128 v56, v[114:117] offset:16640
	ds_write_b128 v57, v[92:95] offset:19968
	ds_write_b128 v57, v[118:121] offset:23296
	s_waitcnt lgkmcnt(0)
	s_barrier
	buffer_gl0_inv
	s_clause 0x1
	global_load_dwordx4 v[88:91], v[122:123], off offset:304
	global_load_dwordx4 v[92:95], v[124:125], off offset:1584
	ds_read_b128 v[96:99], v145 offset:13312
	ds_read_b128 v[102:105], v145 offset:16640
	;; [unrolled: 1-line block ×4, first 2 shown]
	ds_read_b128 v[114:117], v145
	ds_read_b128 v[118:121], v145 offset:3328
	s_waitcnt vmcnt(1) lgkmcnt(5)
	v_mul_f64 v[122:123], v[98:99], v[90:91]
	v_mul_f64 v[124:125], v[96:97], v[90:91]
	s_waitcnt vmcnt(0) lgkmcnt(4)
	v_mul_f64 v[126:127], v[104:105], v[94:95]
	v_mul_f64 v[128:129], v[102:103], v[94:95]
	s_waitcnt lgkmcnt(3)
	v_mul_f64 v[130:131], v[108:109], v[90:91]
	v_mul_f64 v[132:133], v[106:107], v[90:91]
	s_waitcnt lgkmcnt(2)
	v_mul_f64 v[134:135], v[112:113], v[94:95]
	v_mul_f64 v[136:137], v[110:111], v[94:95]
	v_fma_f64 v[122:123], v[96:97], v[88:89], -v[122:123]
	v_fma_f64 v[124:125], v[98:99], v[88:89], v[124:125]
	v_fma_f64 v[126:127], v[102:103], v[92:93], -v[126:127]
	v_fma_f64 v[128:129], v[104:105], v[92:93], v[128:129]
	;; [unrolled: 2-line block ×4, first 2 shown]
	ds_read_b128 v[96:99], v145 offset:6656
	ds_read_b128 v[102:105], v145 offset:9984
	s_waitcnt lgkmcnt(0)
	s_barrier
	buffer_gl0_inv
	v_add_f64 v[106:107], v[114:115], -v[122:123]
	v_add_f64 v[108:109], v[116:117], -v[124:125]
	;; [unrolled: 1-line block ×8, first 2 shown]
	v_add_co_u32 v130, s0, 0x3000, v100
	v_add_co_ci_u32_e64 v131, s0, 0, v101, s0
	v_add_co_u32 v132, s0, 0x4000, v100
	v_add_co_ci_u32_e64 v133, s0, 0, v101, s0
	;; [unrolled: 2-line block ×3, first 2 shown]
	v_fma_f64 v[114:115], v[114:115], 2.0, -v[106:107]
	v_fma_f64 v[116:117], v[116:117], 2.0, -v[108:109]
	;; [unrolled: 1-line block ×8, first 2 shown]
	ds_write_b128 v145, v[106:109] offset:6656
	ds_write_b128 v145, v[110:113] offset:9984
	;; [unrolled: 1-line block ×4, first 2 shown]
	ds_write_b128 v145, v[114:117]
	ds_write_b128 v145, v[118:121] offset:3328
	ds_write_b128 v145, v[96:99] offset:13312
	;; [unrolled: 1-line block ×3, first 2 shown]
	v_add_co_u32 v104, s0, 0x5800, v100
	v_add_co_ci_u32_e64 v105, s0, 0, v101, s0
	s_waitcnt lgkmcnt(0)
	s_barrier
	buffer_gl0_inv
	s_clause 0x3
	global_load_dwordx4 v[96:99], v[130:131], off offset:816
	global_load_dwordx4 v[108:111], v[132:133], off offset:48
	;; [unrolled: 1-line block ×4, first 2 shown]
	ds_read_b128 v[112:115], v145 offset:13312
	ds_read_b128 v[116:119], v145 offset:16640
	;; [unrolled: 1-line block ×4, first 2 shown]
	ds_read_b128 v[128:131], v145
	ds_read_b128 v[132:135], v145 offset:3328
	s_waitcnt vmcnt(2) lgkmcnt(4)
	v_mul_f64 v[140:141], v[118:119], v[110:111]
	v_mul_f64 v[136:137], v[114:115], v[98:99]
	;; [unrolled: 1-line block ×4, first 2 shown]
	s_waitcnt vmcnt(1) lgkmcnt(3)
	v_mul_f64 v[158:159], v[122:123], v[102:103]
	v_mul_f64 v[160:161], v[120:121], v[102:103]
	s_waitcnt vmcnt(0) lgkmcnt(2)
	v_mul_f64 v[162:163], v[126:127], v[106:107]
	v_mul_f64 v[164:165], v[124:125], v[106:107]
	v_fma_f64 v[112:113], v[112:113], v[96:97], -v[136:137]
	v_fma_f64 v[114:115], v[114:115], v[96:97], v[138:139]
	v_fma_f64 v[136:137], v[116:117], v[108:109], -v[140:141]
	v_fma_f64 v[138:139], v[118:119], v[108:109], v[142:143]
	;; [unrolled: 2-line block ×4, first 2 shown]
	ds_read_b128 v[140:143], v145 offset:6656
	ds_read_b128 v[158:161], v145 offset:9984
	s_waitcnt lgkmcnt(3)
	v_add_f64 v[116:117], v[128:129], -v[112:113]
	v_add_f64 v[118:119], v[130:131], -v[114:115]
	s_waitcnt lgkmcnt(2)
	v_add_f64 v[124:125], v[132:133], -v[136:137]
	v_add_f64 v[126:127], v[134:135], -v[138:139]
	;; [unrolled: 3-line block ×4, first 2 shown]
	v_fma_f64 v[112:113], v[128:129], 2.0, -v[116:117]
	v_fma_f64 v[114:115], v[130:131], 2.0, -v[118:119]
	;; [unrolled: 1-line block ×8, first 2 shown]
	ds_write_b128 v145, v[116:119] offset:13312
	ds_write_b128 v145, v[124:127] offset:16640
	;; [unrolled: 1-line block ×4, first 2 shown]
	ds_write_b128 v145, v[112:115]
	ds_write_b128 v145, v[128:131] offset:3328
	ds_write_b128 v145, v[132:135] offset:6656
	;; [unrolled: 1-line block ×3, first 2 shown]
	s_waitcnt lgkmcnt(0)
	s_barrier
	buffer_gl0_inv
	s_and_saveexec_b32 s2, vcc_lo
	s_cbranch_execz .LBB0_9
; %bb.8:
	s_add_u32 s0, s14, 0x6800
	s_addc_u32 s1, s15, 0
	v_or_b32_e32 v146, 0x800, v254
	global_load_dwordx4 v[158:161], v254, s[0:1]
	v_or_b32_e32 v147, 0x1000, v254
	s_clause 0x1
	global_load_dwordx4 v[162:165], v146, s[0:1]
	global_load_dwordx4 v[166:169], v147, s[0:1]
	v_or_b32_e32 v146, 0x1800, v254
	v_or_b32_e32 v147, 0x3000, v254
	global_load_dwordx4 v[170:173], v146, s[0:1]
	v_or_b32_e32 v146, 0x2000, v254
	global_load_dwordx4 v[174:177], v146, s[0:1]
	v_or_b32_e32 v146, 0x2800, v254
	s_clause 0x1
	global_load_dwordx4 v[178:181], v146, s[0:1]
	global_load_dwordx4 v[182:185], v147, s[0:1]
	v_or_b32_e32 v146, 0x3800, v254
	v_or_b32_e32 v147, 0x4000, v254
	s_clause 0x1
	global_load_dwordx4 v[186:189], v146, s[0:1]
	global_load_dwordx4 v[190:193], v147, s[0:1]
	v_or_b32_e32 v146, 0x4800, v254
	v_or_b32_e32 v147, 0x5800, v254
	global_load_dwordx4 v[194:197], v146, s[0:1]
	v_or_b32_e32 v146, 0x5000, v254
	global_load_dwordx4 v[198:201], v146, s[0:1]
	v_or_b32_e32 v146, 0x6000, v254
	s_clause 0x1
	global_load_dwordx4 v[202:205], v147, s[0:1]
	global_load_dwordx4 v[206:209], v146, s[0:1]
	ds_read_b128 v[210:213], v145
	s_waitcnt vmcnt(12) lgkmcnt(0)
	v_mul_f64 v[214:215], v[212:213], v[160:161]
	v_mul_f64 v[160:161], v[210:211], v[160:161]
	v_fma_f64 v[210:211], v[210:211], v[158:159], -v[214:215]
	v_fma_f64 v[212:213], v[212:213], v[158:159], v[160:161]
	ds_write_b128 v145, v[210:213]
	ds_read_b128 v[158:161], v254 offset:2048
	ds_read_b128 v[210:213], v254 offset:4096
	;; [unrolled: 1-line block ×4, first 2 shown]
	s_waitcnt vmcnt(11) lgkmcnt(3)
	v_mul_f64 v[222:223], v[160:161], v[164:165]
	v_mul_f64 v[164:165], v[158:159], v[164:165]
	s_waitcnt vmcnt(10) lgkmcnt(2)
	v_mul_f64 v[224:225], v[212:213], v[168:169]
	v_mul_f64 v[168:169], v[210:211], v[168:169]
	v_fma_f64 v[158:159], v[158:159], v[162:163], -v[222:223]
	s_waitcnt vmcnt(9) lgkmcnt(1)
	v_mul_f64 v[222:223], v[216:217], v[172:173]
	v_fma_f64 v[160:161], v[160:161], v[162:163], v[164:165]
	v_mul_f64 v[172:173], v[214:215], v[172:173]
	v_fma_f64 v[162:163], v[210:211], v[166:167], -v[224:225]
	s_waitcnt vmcnt(8) lgkmcnt(0)
	v_mul_f64 v[224:225], v[220:221], v[176:177]
	v_mul_f64 v[176:177], v[218:219], v[176:177]
	v_fma_f64 v[164:165], v[212:213], v[166:167], v[168:169]
	ds_read_b128 v[166:169], v254 offset:10240
	ds_read_b128 v[210:213], v254 offset:12288
	v_fma_f64 v[214:215], v[214:215], v[170:171], -v[222:223]
	v_fma_f64 v[216:217], v[216:217], v[170:171], v[172:173]
	s_waitcnt vmcnt(7) lgkmcnt(1)
	v_mul_f64 v[222:223], v[168:169], v[180:181]
	v_mul_f64 v[180:181], v[166:167], v[180:181]
	s_waitcnt vmcnt(6) lgkmcnt(0)
	v_mul_f64 v[226:227], v[212:213], v[184:185]
	v_mul_f64 v[184:185], v[210:211], v[184:185]
	v_fma_f64 v[170:171], v[218:219], v[174:175], -v[224:225]
	v_fma_f64 v[172:173], v[220:221], v[174:175], v[176:177]
	ds_read_b128 v[174:177], v254 offset:14336
	ds_read_b128 v[218:221], v254 offset:16384
	v_fma_f64 v[166:167], v[166:167], v[178:179], -v[222:223]
	v_fma_f64 v[168:169], v[168:169], v[178:179], v[180:181]
	v_fma_f64 v[178:179], v[210:211], v[182:183], -v[226:227]
	v_fma_f64 v[180:181], v[212:213], v[182:183], v[184:185]
	s_waitcnt vmcnt(5) lgkmcnt(1)
	v_mul_f64 v[222:223], v[176:177], v[188:189]
	v_mul_f64 v[188:189], v[174:175], v[188:189]
	s_waitcnt vmcnt(4) lgkmcnt(0)
	v_mul_f64 v[224:225], v[220:221], v[192:193]
	ds_read_b128 v[182:185], v254 offset:18432
	ds_read_b128 v[210:213], v254 offset:20480
	v_mul_f64 v[192:193], v[218:219], v[192:193]
	v_fma_f64 v[174:175], v[174:175], v[186:187], -v[222:223]
	s_waitcnt vmcnt(3) lgkmcnt(1)
	v_mul_f64 v[226:227], v[184:185], v[196:197]
	v_fma_f64 v[176:177], v[176:177], v[186:187], v[188:189]
	v_fma_f64 v[186:187], v[218:219], v[190:191], -v[224:225]
	ds_read_b128 v[222:225], v254 offset:22528
	v_fma_f64 v[188:189], v[220:221], v[190:191], v[192:193]
	ds_read_b128 v[190:193], v254 offset:24576
	v_mul_f64 v[196:197], v[182:183], v[196:197]
	s_waitcnt vmcnt(2) lgkmcnt(2)
	v_mul_f64 v[218:219], v[212:213], v[200:201]
	v_mul_f64 v[200:201], v[210:211], v[200:201]
	v_fma_f64 v[182:183], v[182:183], v[194:195], -v[226:227]
	s_waitcnt vmcnt(1) lgkmcnt(1)
	v_mul_f64 v[220:221], v[224:225], v[204:205]
	v_mul_f64 v[204:205], v[222:223], v[204:205]
	s_waitcnt vmcnt(0) lgkmcnt(0)
	v_mul_f64 v[226:227], v[192:193], v[208:209]
	v_mul_f64 v[208:209], v[190:191], v[208:209]
	v_fma_f64 v[184:185], v[184:185], v[194:195], v[196:197]
	v_fma_f64 v[194:195], v[210:211], v[198:199], -v[218:219]
	v_fma_f64 v[196:197], v[212:213], v[198:199], v[200:201]
	v_fma_f64 v[198:199], v[222:223], v[202:203], -v[220:221]
	;; [unrolled: 2-line block ×3, first 2 shown]
	v_fma_f64 v[192:193], v[192:193], v[206:207], v[208:209]
	ds_write_b128 v254, v[158:161] offset:2048
	ds_write_b128 v254, v[162:165] offset:4096
	;; [unrolled: 1-line block ×12, first 2 shown]
.LBB0_9:
	s_or_b32 exec_lo, exec_lo, s2
	s_waitcnt lgkmcnt(0)
	s_barrier
	buffer_gl0_inv
	s_and_saveexec_b32 s0, vcc_lo
	s_cbranch_execz .LBB0_11
; %bb.10:
	ds_read_b128 v[112:115], v145
	ds_read_b128 v[116:119], v145 offset:2048
	ds_read_b128 v[128:131], v145 offset:4096
	;; [unrolled: 1-line block ×12, first 2 shown]
.LBB0_11:
	s_or_b32 exec_lo, exec_lo, s0
	s_waitcnt lgkmcnt(0)
	s_barrier
	buffer_gl0_inv
	s_and_saveexec_b32 s33, vcc_lo
	s_cbranch_execz .LBB0_13
; %bb.12:
	v_add_f64 v[158:159], v[114:115], v[118:119]
	v_add_f64 v[160:161], v[112:113], v[116:117]
	v_add_f64 v[166:167], v[140:141], -v[136:137]
	v_add_f64 v[168:169], v[124:125], -v[8:9]
	;; [unrolled: 1-line block ×3, first 2 shown]
	v_add_f64 v[172:173], v[138:139], v[142:143]
	v_add_f64 v[174:175], v[120:121], -v[12:13]
	v_add_f64 v[176:177], v[128:129], -v[4:5]
	;; [unrolled: 1-line block ×5, first 2 shown]
	s_mov_b32 s37, 0x3fddbe06
	s_mov_b32 s36, 0x4267c47c
	;; [unrolled: 1-line block ×7, first 2 shown]
	v_add_f64 v[164:165], v[118:119], -v[2:3]
	s_mov_b32 s25, 0x3fefc445
	s_mov_b32 s23, 0xbfedeba7
	v_add_f64 v[182:183], v[14:15], v[122:123]
	v_add_f64 v[158:159], v[130:131], v[158:159]
	;; [unrolled: 1-line block ×5, first 2 shown]
	s_mov_b32 s35, 0xbfcea1e5
	s_mov_b32 s1, 0x3fea55e2
	;; [unrolled: 1-line block ×7, first 2 shown]
	v_mul_f64 v[184:185], v[170:171], s[36:37]
	s_mov_b32 s18, 0xebaa3ed8
	s_mov_b32 s20, 0xb2365da1
	;; [unrolled: 1-line block ×10, first 2 shown]
	v_add_f64 v[158:159], v[126:127], v[158:159]
	v_add_f64 v[160:161], v[124:125], v[160:161]
	;; [unrolled: 1-line block ×4, first 2 shown]
	s_mov_b32 s11, 0xbfe7f3cc
	s_mov_b32 s17, 0x3fec55a7
	v_mul_f64 v[204:205], v[164:165], s[28:29]
	v_mul_f64 v[206:207], v[164:165], s[22:23]
	v_mul_f64 v[208:209], v[164:165], s[26:27]
	v_mul_f64 v[210:211], v[164:165], s[30:31]
	v_mov_b32_e32 v36, v228
	v_mov_b32_e32 v37, v229
	;; [unrolled: 1-line block ×8, first 2 shown]
	v_mul_f64 v[232:233], v[166:167], s[24:25]
	v_mul_f64 v[52:53], v[178:179], s[22:23]
	;; [unrolled: 1-line block ×3, first 2 shown]
	v_mov_b32_e32 v25, v242
	v_add_f64 v[158:159], v[134:135], v[158:159]
	v_add_f64 v[160:161], v[132:133], v[160:161]
	s_mov_b32 s39, 0x3fe5384d
	s_mov_b32 s38, s28
	v_mov_b32_e32 v28, v148
	v_mov_b32_e32 v29, v149
	;; [unrolled: 1-line block ×13, first 2 shown]
	v_mul_f64 v[248:249], v[174:175], s[24:25]
	v_mov_b32_e32 v32, v152
	v_mov_b32_e32 v33, v153
	;; [unrolled: 1-line block ×4, first 2 shown]
	v_add_f64 v[158:159], v[122:123], v[158:159]
	v_add_f64 v[160:161], v[120:121], v[160:161]
	v_mul_f64 v[154:155], v[166:167], s[28:29]
	v_add_f64 v[158:159], v[142:143], v[158:159]
	v_add_f64 v[160:161], v[140:141], v[160:161]
	;; [unrolled: 1-line block ×5, first 2 shown]
	v_add_f64 v[138:139], v[142:143], -v[138:139]
	v_add_f64 v[140:141], v[132:133], -v[16:17]
	v_add_f64 v[142:143], v[134:135], v[18:19]
	v_add_f64 v[134:135], v[134:135], -v[18:19]
	v_add_f64 v[132:133], v[132:133], v[16:17]
	v_add_f64 v[158:159], v[14:15], v[158:159]
	;; [unrolled: 1-line block ×3, first 2 shown]
	v_mul_f64 v[14:15], v[178:179], s[36:37]
	v_mul_f64 v[26:27], v[138:139], s[36:37]
	;; [unrolled: 1-line block ×7, first 2 shown]
	v_add_f64 v[158:159], v[18:19], v[158:159]
	v_add_f64 v[160:161], v[16:17], v[160:161]
	v_mul_f64 v[16:17], v[174:175], s[36:37]
	v_mul_f64 v[18:19], v[180:181], s[36:37]
	v_add_f64 v[158:159], v[10:11], v[158:159]
	v_add_f64 v[160:161], v[8:9], v[160:161]
	;; [unrolled: 1-line block ×4, first 2 shown]
	v_mul_f64 v[116:117], v[162:163], s[22:23]
	v_mul_f64 v[118:119], v[162:163], s[26:27]
	v_add_f64 v[6:7], v[6:7], v[158:159]
	v_add_f64 v[4:5], v[4:5], v[160:161]
	v_add_f64 v[158:159], v[12:13], v[120:121]
	v_mul_f64 v[12:13], v[176:177], s[36:37]
	v_mul_f64 v[160:161], v[168:169], s[36:37]
	;; [unrolled: 1-line block ×3, first 2 shown]
	v_fma_f64 v[196:197], v[8:9], s[20:21], v[116:117]
	v_fma_f64 v[116:117], v[8:9], s[20:21], -v[116:117]
	v_fma_f64 v[198:199], v[8:9], s[18:19], v[118:119]
	v_fma_f64 v[118:119], v[8:9], s[18:19], -v[118:119]
	v_fma_f64 v[214:215], v[10:11], s[10:11], -v[204:205]
	v_fma_f64 v[204:205], v[10:11], s[10:11], v[204:205]
	v_fma_f64 v[216:217], v[10:11], s[20:21], -v[206:207]
	v_fma_f64 v[206:207], v[10:11], s[20:21], v[206:207]
	;; [unrolled: 2-line block ×3, first 2 shown]
	v_fma_f64 v[220:221], v[10:11], s[8:9], v[210:211]
	v_fma_f64 v[210:211], v[10:11], s[8:9], -v[210:211]
	v_add_f64 v[192:193], v[2:3], v[6:7]
	v_add_f64 v[190:191], v[0:1], v[4:5]
	v_mul_f64 v[1:2], v[166:167], s[36:37]
	s_mov_b32 s37, 0xbfddbe06
	v_mul_f64 v[4:5], v[162:163], s[34:35]
	v_mul_f64 v[6:7], v[162:163], s[28:29]
	;; [unrolled: 1-line block ×3, first 2 shown]
	v_fma_f64 v[200:201], v[8:9], s[8:9], -v[120:121]
	v_fma_f64 v[120:121], v[8:9], s[8:9], v[120:121]
	v_add_f64 v[226:227], v[114:115], v[116:117]
	v_add_f64 v[214:215], v[112:113], v[214:215]
	;; [unrolled: 1-line block ×12, first 2 shown]
	v_mov_b32_e32 v0, v57
	v_mov_b32_e32 v57, v240
	;; [unrolled: 1-line block ×4, first 2 shown]
	v_mul_f64 v[246:247], v[134:135], s[38:39]
	v_fma_f64 v[162:163], v[8:9], s[2:3], v[4:5]
	v_fma_f64 v[4:5], v[8:9], s[2:3], -v[4:5]
	v_fma_f64 v[194:195], v[8:9], s[10:11], v[6:7]
	v_fma_f64 v[6:7], v[8:9], s[10:11], -v[6:7]
	v_fma_f64 v[202:203], v[8:9], s[16:17], -v[122:123]
	v_fma_f64 v[8:9], v[8:9], s[16:17], v[122:123]
	v_mul_f64 v[122:123], v[164:165], s[34:35]
	v_mul_f64 v[164:165], v[164:165], s[36:37]
	v_add_f64 v[116:117], v[114:115], v[200:201]
	v_add_f64 v[200:201], v[114:115], v[120:121]
	s_mov_b32 s37, 0x3fcea1e5
	s_mov_b32 s36, s34
	v_add_f64 v[162:163], v[114:115], v[162:163]
	v_add_f64 v[194:195], v[114:115], v[194:195]
	;; [unrolled: 1-line block ×3, first 2 shown]
	v_fma_f64 v[6:7], v[128:129], s[16:17], -v[14:15]
	v_add_f64 v[120:121], v[114:115], v[202:203]
	v_fma_f64 v[212:213], v[10:11], s[2:3], -v[122:123]
	v_fma_f64 v[122:123], v[10:11], s[2:3], v[122:123]
	v_fma_f64 v[222:223], v[10:11], s[16:17], v[164:165]
	v_fma_f64 v[10:11], v[10:11], s[16:17], -v[164:165]
	v_fma_f64 v[14:15], v[128:129], s[16:17], v[14:15]
	v_add_f64 v[164:165], v[112:113], v[212:213]
	v_add_f64 v[212:213], v[114:115], v[4:5]
	;; [unrolled: 1-line block ×3, first 2 shown]
	v_mul_f64 v[8:9], v[168:169], s[28:29]
	v_add_f64 v[122:123], v[112:113], v[122:123]
	v_add_f64 v[202:203], v[112:113], v[222:223]
	v_mov_b32_e32 v223, v23
	v_mov_b32_e32 v222, v22
	;; [unrolled: 1-line block ×7, first 2 shown]
	v_mul_f64 v[250:251], v[180:181], s[24:25]
	buffer_store_dword v3, off, s[48:51], 0 offset:68 ; 4-byte Folded Spill
	buffer_store_dword v4, off, s[48:51], 0 offset:72 ; 4-byte Folded Spill
	v_add_f64 v[3:4], v[112:113], v[10:11]
	v_fma_f64 v[10:11], v[126:127], s[10:11], v[8:9]
	v_add_f64 v[6:7], v[6:7], v[164:165]
	v_fma_f64 v[8:9], v[126:127], s[10:11], -v[8:9]
	v_add_f64 v[14:15], v[14:15], v[122:123]
	v_mul_f64 v[122:123], v[168:169], s[30:31]
	v_mov_b32_e32 v22, v252
	v_mov_b32_e32 v23, v253
	v_mul_f64 v[252:253], v[176:177], s[34:35]
	buffer_store_dword v3, off, s[48:51], 0 offset:60 ; 4-byte Folded Spill
	buffer_store_dword v4, off, s[48:51], 0 offset:64 ; 4-byte Folded Spill
	v_fma_f64 v[4:5], v[130:131], s[16:17], v[12:13]
	v_fma_f64 v[12:13], v[130:131], s[16:17], -v[12:13]
	v_mov_b32_e32 v3, v243
	v_mul_f64 v[242:243], v[170:171], s[34:35]
	v_add_f64 v[4:5], v[4:5], v[162:163]
	v_add_f64 v[12:13], v[12:13], v[212:213]
	;; [unrolled: 1-line block ×3, first 2 shown]
	v_mul_f64 v[10:11], v[170:171], s[28:29]
	v_add_f64 v[8:9], v[8:9], v[12:13]
	v_fma_f64 v[112:113], v[124:125], s[10:11], -v[10:11]
	v_fma_f64 v[10:11], v[124:125], s[10:11], v[10:11]
	v_add_f64 v[6:7], v[112:113], v[6:7]
	v_mul_f64 v[112:113], v[140:141], s[0:1]
	v_add_f64 v[10:11], v[10:11], v[14:15]
	v_fma_f64 v[14:15], v[136:137], s[18:19], v[234:235]
	v_fma_f64 v[114:115], v[142:143], s[8:9], v[112:113]
	v_fma_f64 v[12:13], v[142:143], s[8:9], -v[112:113]
	v_mul_f64 v[112:113], v[176:177], s[24:25]
	v_add_f64 v[4:5], v[114:115], v[4:5]
	v_mul_f64 v[114:115], v[134:135], s[0:1]
	v_add_f64 v[8:9], v[12:13], v[8:9]
	v_fma_f64 v[162:163], v[132:133], s[8:9], -v[114:115]
	v_fma_f64 v[12:13], v[132:133], s[8:9], v[114:115]
	v_mul_f64 v[114:115], v[178:179], s[24:25]
	v_add_f64 v[6:7], v[162:163], v[6:7]
	v_mul_f64 v[162:163], v[174:175], s[22:23]
	v_add_f64 v[10:11], v[12:13], v[10:11]
	v_fma_f64 v[164:165], v[182:183], s[20:21], v[162:163]
	v_fma_f64 v[12:13], v[182:183], s[20:21], -v[162:163]
	v_fma_f64 v[162:163], v[126:127], s[8:9], v[122:123]
	v_fma_f64 v[122:123], v[126:127], s[8:9], -v[122:123]
	v_add_f64 v[4:5], v[164:165], v[4:5]
	v_mul_f64 v[164:165], v[180:181], s[22:23]
	v_add_f64 v[8:9], v[12:13], v[8:9]
	v_fma_f64 v[12:13], v[158:159], s[20:21], v[164:165]
	v_fma_f64 v[230:231], v[158:159], s[20:21], -v[164:165]
	v_add_f64 v[12:13], v[12:13], v[10:11]
	v_fma_f64 v[10:11], v[172:173], s[18:19], -v[232:233]
	v_add_f64 v[230:231], v[230:231], v[6:7]
	v_fma_f64 v[6:7], v[172:173], s[18:19], v[232:233]
	v_mul_f64 v[232:233], v[138:139], s[34:35]
	v_add_f64 v[10:11], v[10:11], v[8:9]
	v_add_f64 v[8:9], v[14:15], v[12:13]
	v_fma_f64 v[12:13], v[130:131], s[18:19], v[112:113]
	v_fma_f64 v[14:15], v[128:129], s[18:19], -v[114:115]
	v_fma_f64 v[112:113], v[130:131], s[18:19], -v[112:113]
	v_fma_f64 v[114:115], v[128:129], s[18:19], v[114:115]
	v_add_f64 v[6:7], v[6:7], v[4:5]
	v_fma_f64 v[4:5], v[136:137], s[18:19], -v[234:235]
	v_mul_f64 v[234:235], v[176:177], s[22:23]
	v_add_f64 v[12:13], v[12:13], v[194:195]
	v_add_f64 v[14:15], v[14:15], v[214:215]
	;; [unrolled: 1-line block ×4, first 2 shown]
	v_mul_f64 v[214:215], v[166:167], s[22:23]
	v_add_f64 v[4:5], v[4:5], v[230:231]
	v_mul_f64 v[230:231], v[138:139], s[22:23]
	v_mul_f64 v[204:205], v[140:141], s[22:23]
	v_mul_f64 v[224:225], v[180:181], s[28:29]
	v_add_f64 v[12:13], v[162:163], v[12:13]
	v_mul_f64 v[162:163], v[170:171], s[30:31]
	v_add_f64 v[112:113], v[122:123], v[112:113]
	v_fma_f64 v[164:165], v[124:125], s[8:9], -v[162:163]
	v_fma_f64 v[122:123], v[124:125], s[8:9], v[162:163]
	v_mul_f64 v[162:163], v[176:177], s[30:31]
	v_add_f64 v[14:15], v[164:165], v[14:15]
	v_mul_f64 v[164:165], v[140:141], s[36:37]
	v_add_f64 v[114:115], v[122:123], v[114:115]
	v_mul_f64 v[140:141], v[140:141], s[26:27]
	v_fma_f64 v[194:195], v[142:143], s[2:3], v[164:165]
	v_fma_f64 v[122:123], v[142:143], s[2:3], -v[164:165]
	v_mul_f64 v[164:165], v[178:179], s[30:31]
	v_add_f64 v[12:13], v[194:195], v[12:13]
	v_mul_f64 v[194:195], v[134:135], s[36:37]
	v_add_f64 v[112:113], v[122:123], v[112:113]
	v_fma_f64 v[212:213], v[132:133], s[2:3], -v[194:195]
	v_fma_f64 v[122:123], v[132:133], s[2:3], v[194:195]
	v_mul_f64 v[194:195], v[168:169], s[26:27]
	v_add_f64 v[14:15], v[212:213], v[14:15]
	v_fma_f64 v[212:213], v[182:183], s[16:17], v[16:17]
	v_add_f64 v[114:115], v[122:123], v[114:115]
	v_fma_f64 v[16:17], v[182:183], s[16:17], -v[16:17]
	v_add_f64 v[12:13], v[212:213], v[12:13]
	v_fma_f64 v[212:213], v[158:159], s[16:17], -v[18:19]
	v_fma_f64 v[18:19], v[158:159], s[16:17], v[18:19]
	v_add_f64 v[16:17], v[16:17], v[112:113]
	v_add_f64 v[212:213], v[212:213], v[14:15]
	;; [unrolled: 1-line block ×3, first 2 shown]
	v_fma_f64 v[18:19], v[172:173], s[20:21], -v[214:215]
	v_fma_f64 v[114:115], v[136:137], s[20:21], v[230:231]
	v_fma_f64 v[14:15], v[172:173], s[20:21], v[214:215]
	v_mul_f64 v[214:215], v[174:175], s[28:29]
	v_add_f64 v[18:19], v[18:19], v[16:17]
	v_add_f64 v[16:17], v[114:115], v[112:113]
	v_fma_f64 v[112:113], v[130:131], s[8:9], -v[162:163]
	v_fma_f64 v[114:115], v[128:129], s[8:9], v[164:165]
	v_add_f64 v[14:15], v[14:15], v[12:13]
	v_fma_f64 v[12:13], v[136:137], s[20:21], -v[230:231]
	v_mul_f64 v[230:231], v[166:167], s[34:35]
	v_add_f64 v[112:113], v[112:113], v[120:121]
	v_add_f64 v[114:115], v[114:115], v[202:203]
	v_fma_f64 v[120:121], v[126:127], s[18:19], -v[194:195]
	v_mul_f64 v[202:203], v[170:171], s[26:27]
	v_add_f64 v[12:13], v[12:13], v[212:213]
	v_mul_f64 v[212:213], v[134:135], s[22:23]
	s_mov_b32 s23, 0x3fedeba7
	v_mul_f64 v[134:135], v[134:135], s[26:27]
	v_mul_f64 v[168:169], v[168:169], s[22:23]
	;; [unrolled: 1-line block ×3, first 2 shown]
	v_add_f64 v[112:113], v[120:121], v[112:113]
	v_fma_f64 v[120:121], v[124:125], s[18:19], v[202:203]
	v_fma_f64 v[122:123], v[126:127], s[20:21], -v[168:169]
	v_add_f64 v[114:115], v[120:121], v[114:115]
	v_fma_f64 v[120:121], v[142:143], s[20:21], -v[204:205]
	v_add_f64 v[112:113], v[120:121], v[112:113]
	v_fma_f64 v[120:121], v[132:133], s[20:21], v[212:213]
	v_add_f64 v[114:115], v[120:121], v[114:115]
	v_fma_f64 v[120:121], v[182:183], s[10:11], -v[214:215]
	v_add_f64 v[112:113], v[120:121], v[112:113]
	v_fma_f64 v[120:121], v[158:159], s[10:11], v[224:225]
	;; [unrolled: 4-line block ×8, first 2 shown]
	v_add_f64 v[116:117], v[116:117], v[120:121]
	v_fma_f64 v[120:121], v[130:131], s[2:3], -v[252:253]
	v_add_f64 v[120:121], v[120:121], v[228:229]
	v_mul_f64 v[228:229], v[178:179], s[34:35]
	v_mul_f64 v[178:179], v[178:179], s[38:39]
	v_add_f64 v[120:121], v[122:123], v[120:121]
	v_fma_f64 v[122:123], v[142:143], s[16:17], -v[186:187]
	v_add_f64 v[120:121], v[122:123], v[120:121]
	v_fma_f64 v[122:123], v[128:129], s[2:3], v[228:229]
	v_add_f64 v[122:123], v[122:123], v[208:209]
	v_fma_f64 v[208:209], v[124:125], s[20:21], v[170:171]
	;; [unrolled: 2-line block ×3, first 2 shown]
	v_add_f64 v[122:123], v[208:209], v[122:123]
	v_mul_f64 v[208:209], v[174:175], s[30:31]
	v_mul_f64 v[174:175], v[174:175], s[36:37]
	v_fma_f64 v[150:151], v[182:183], s[8:9], -v[208:209]
	v_add_f64 v[120:121], v[150:151], v[120:121]
	v_mul_f64 v[150:151], v[180:181], s[30:31]
	v_mul_f64 v[180:181], v[180:181], s[36:37]
	v_fma_f64 v[152:153], v[158:159], s[8:9], v[150:151]
	v_fma_f64 v[150:151], v[158:159], s[8:9], -v[150:151]
	v_add_f64 v[152:153], v[152:153], v[122:123]
	v_fma_f64 v[122:123], v[172:173], s[10:11], -v[154:155]
	v_fma_f64 v[154:155], v[172:173], s[10:11], v[154:155]
	v_add_f64 v[122:123], v[122:123], v[120:121]
	v_fma_f64 v[120:121], v[136:137], s[10:11], v[146:147]
	v_fma_f64 v[146:147], v[136:137], s[10:11], -v[146:147]
	v_add_f64 v[120:121], v[120:121], v[152:153]
	v_mul_f64 v[152:153], v[176:177], s[38:39]
	v_fma_f64 v[176:177], v[130:131], s[10:11], -v[152:153]
	v_fma_f64 v[152:153], v[130:131], s[10:11], v[152:153]
	v_add_f64 v[176:177], v[176:177], v[226:227]
	v_fma_f64 v[226:227], v[128:129], s[10:11], v[178:179]
	v_add_f64 v[152:153], v[152:153], v[196:197]
	v_fma_f64 v[196:197], v[128:129], s[2:3], -v[228:229]
	v_fma_f64 v[178:179], v[128:129], s[10:11], -v[178:179]
	v_add_f64 v[206:207], v[226:227], v[206:207]
	v_fma_f64 v[226:227], v[126:127], s[16:17], -v[160:161]
	v_fma_f64 v[160:161], v[126:127], s[16:17], v[160:161]
	v_add_f64 v[196:197], v[196:197], v[218:219]
	v_add_f64 v[178:179], v[178:179], v[216:217]
	;; [unrolled: 1-line block ×4, first 2 shown]
	v_fma_f64 v[160:161], v[130:131], s[2:3], v[252:253]
	v_mov_b32_e32 v253, v23
	v_mov_b32_e32 v252, v22
	s_clause 0x1
	buffer_load_dword v22, off, s[48:51], 0 offset:68
	buffer_load_dword v23, off, s[48:51], 0 offset:72
	v_fma_f64 v[226:227], v[124:125], s[16:17], v[184:185]
	v_fma_f64 v[184:185], v[124:125], s[16:17], -v[184:185]
	v_add_f64 v[160:161], v[160:161], v[198:199]
	v_add_f64 v[206:207], v[226:227], v[206:207]
	v_fma_f64 v[226:227], v[142:143], s[18:19], -v[140:141]
	v_fma_f64 v[140:141], v[142:143], s[18:19], v[140:141]
	v_add_f64 v[178:179], v[184:185], v[178:179]
	v_add_f64 v[176:177], v[226:227], v[176:177]
	;; [unrolled: 1-line block ×3, first 2 shown]
	v_fma_f64 v[152:153], v[126:127], s[20:21], v[168:169]
	v_fma_f64 v[168:169], v[142:143], s[16:17], v[186:187]
	;; [unrolled: 1-line block ×3, first 2 shown]
	v_fma_f64 v[134:135], v[132:133], s[18:19], -v[134:135]
	v_add_f64 v[152:153], v[152:153], v[160:161]
	v_fma_f64 v[160:161], v[124:125], s[20:21], -v[170:171]
	v_fma_f64 v[170:171], v[124:125], s[2:3], -v[242:243]
	;; [unrolled: 1-line block ×3, first 2 shown]
	v_add_f64 v[206:207], v[226:227], v[206:207]
	v_fma_f64 v[226:227], v[182:183], s[2:3], -v[174:175]
	v_add_f64 v[134:135], v[134:135], v[178:179]
	v_mov_b32_e32 v243, v3
	v_add_f64 v[152:153], v[168:169], v[152:153]
	v_add_f64 v[160:161], v[160:161], v[196:197]
	v_fma_f64 v[168:169], v[132:133], s[16:17], -v[188:189]
	v_add_f64 v[176:177], v[226:227], v[176:177]
	v_fma_f64 v[226:227], v[158:159], s[2:3], v[180:181]
	v_add_f64 v[160:161], v[168:169], v[160:161]
	v_fma_f64 v[168:169], v[130:131], s[20:21], v[234:235]
	v_fma_f64 v[130:131], v[130:131], s[8:9], v[162:163]
	v_fma_f64 v[162:163], v[128:129], s[20:21], -v[52:53]
	v_fma_f64 v[128:129], v[128:129], s[8:9], -v[164:165]
	v_add_f64 v[206:207], v[226:227], v[206:207]
	v_add_f64 v[164:165], v[168:169], v[200:201]
	v_fma_f64 v[168:169], v[126:127], s[2:3], v[54:55]
	v_add_f64 v[162:163], v[162:163], v[210:211]
	v_fma_f64 v[126:127], v[126:127], s[18:19], v[194:195]
	v_add_f64 v[164:165], v[168:169], v[164:165]
	v_add_f64 v[162:163], v[170:171], v[162:163]
	v_fma_f64 v[168:169], v[142:143], s[10:11], v[148:149]
	v_fma_f64 v[142:143], v[142:143], s[20:21], v[204:205]
	;; [unrolled: 1-line block ×3, first 2 shown]
	s_waitcnt vmcnt(0)
	v_add_f64 v[130:131], v[130:131], v[22:23]
	s_clause 0x1
	buffer_load_dword v22, off, s[48:51], 0 offset:60
	buffer_load_dword v23, off, s[48:51], 0 offset:64
	v_add_f64 v[126:127], v[126:127], v[130:131]
	v_fma_f64 v[130:131], v[132:133], s[10:11], -v[246:247]
	v_fma_f64 v[132:133], v[132:133], s[20:21], -v[212:213]
	v_mov_b32_e32 v247, v255
	v_mov_b32_e32 v255, v24
	;; [unrolled: 1-line block ×6, first 2 shown]
	v_add_f64 v[126:127], v[142:143], v[126:127]
	v_add_f64 v[130:131], v[130:131], v[162:163]
	v_fma_f64 v[162:163], v[182:183], s[2:3], v[174:175]
	v_fma_f64 v[142:143], v[158:159], s[2:3], -v[180:181]
	v_fma_f64 v[174:175], v[158:159], s[18:19], -v[250:251]
	;; [unrolled: 1-line block ×3, first 2 shown]
	v_mov_b32_e32 v251, v21
	v_mov_b32_e32 v250, v241
	;; [unrolled: 1-line block ×3, first 2 shown]
	v_add_f64 v[134:135], v[142:143], v[134:135]
	v_add_f64 v[142:143], v[150:151], v[160:161]
	v_fma_f64 v[160:161], v[172:173], s[16:17], v[1:2]
	s_waitcnt vmcnt(0)
	v_add_f64 v[128:129], v[128:129], v[22:23]
	v_mov_b32_e32 v20, v220
	v_mov_b32_e32 v21, v221
	;; [unrolled: 1-line block ×4, first 2 shown]
	v_add_f64 v[124:125], v[124:125], v[128:129]
	v_add_f64 v[128:129], v[168:169], v[164:165]
	v_fma_f64 v[164:165], v[182:183], s[8:9], v[208:209]
	v_fma_f64 v[168:169], v[182:183], s[18:19], v[248:249]
	v_mov_b32_e32 v249, v157
	v_mov_b32_e32 v157, v58
	v_mov_b32_e32 v248, v245
	v_mov_b32_e32 v245, v156
	v_mov_b32_e32 v156, v254
	v_mov_b32_e32 v254, v56
	v_mov_b32_e32 v56, v59
	v_add_f64 v[124:125], v[132:133], v[124:125]
	v_add_f64 v[132:133], v[162:163], v[140:141]
	v_add_f64 v[140:141], v[164:165], v[152:153]
	v_add_f64 v[150:151], v[168:169], v[128:129]
	v_mul_f64 v[128:129], v[166:167], s[0:1]
	v_add_f64 v[164:165], v[170:171], v[126:127]
	v_mul_f64 v[126:127], v[138:139], s[0:1]
	v_add_f64 v[152:153], v[174:175], v[130:131]
	v_fma_f64 v[168:169], v[136:137], s[16:17], -v[26:27]
	v_fma_f64 v[162:163], v[172:173], s[2:3], v[230:231]
	v_fma_f64 v[170:171], v[136:137], s[2:3], -v[232:233]
	v_mov_b32_e32 v231, v39
	v_mov_b32_e32 v235, v43
	;; [unrolled: 1-line block ×8, first 2 shown]
	v_add_f64 v[158:159], v[158:159], v[124:125]
	v_fma_f64 v[130:131], v[172:173], s[8:9], -v[128:129]
	v_fma_f64 v[128:129], v[172:173], s[8:9], v[128:129]
	v_fma_f64 v[138:139], v[136:137], s[8:9], v[126:127]
	v_fma_f64 v[166:167], v[136:137], s[8:9], -v[126:127]
	v_add_f64 v[136:137], v[168:169], v[152:153]
	v_add_f64 v[126:127], v[130:131], v[176:177]
	;; [unrolled: 1-line block ×10, first 2 shown]
	v_mov_b32_e32 v146, 4
	v_mov_b32_e32 v151, v31
	;; [unrolled: 1-line block ×9, first 2 shown]
	v_lshlrev_b32_sdwa v146, v146, v25 dst_sel:DWORD dst_unused:UNUSED_PAD src0_sel:DWORD src1_sel:WORD_0
	ds_write_b128 v146, v[190:193]
	ds_write_b128 v146, v[112:115] offset:16
	ds_write_b128 v146, v[116:119] offset:32
	;; [unrolled: 1-line block ×12, first 2 shown]
.LBB0_13:
	s_or_b32 exec_lo, exec_lo, s33
	s_waitcnt lgkmcnt(0)
	s_waitcnt_vscnt null, 0x0
	s_barrier
	buffer_gl0_inv
	ds_read_b128 v[0:3], v145 offset:13312
	ds_read_b128 v[4:7], v145 offset:16640
	;; [unrolled: 1-line block ×4, first 2 shown]
	ds_read_b128 v[16:19], v145
	ds_read_b128 v[112:115], v145 offset:3328
	s_waitcnt lgkmcnt(5)
	v_mul_f64 v[116:117], v[230:231], v[2:3]
	v_mul_f64 v[34:35], v[230:231], v[0:1]
	s_waitcnt lgkmcnt(4)
	v_mul_f64 v[118:119], v[154:155], v[6:7]
	v_mul_f64 v[30:31], v[154:155], v[4:5]
	;; [unrolled: 3-line block ×4, first 2 shown]
	v_fma_f64 v[116:117], v[228:229], v[0:1], v[116:117]
	v_fma_f64 v[32:33], v[228:229], v[2:3], -v[34:35]
	v_fma_f64 v[34:35], v[152:153], v[4:5], v[118:119]
	v_fma_f64 v[28:29], v[152:153], v[6:7], -v[30:31]
	;; [unrolled: 2-line block ×3, first 2 shown]
	v_fma_f64 v[118:119], v[148:149], v[12:13], v[122:123]
	ds_read_b128 v[0:3], v145 offset:6656
	ds_read_b128 v[4:7], v145 offset:9984
	v_fma_f64 v[26:27], v[148:149], v[14:15], -v[26:27]
	s_waitcnt lgkmcnt(0)
	s_barrier
	buffer_gl0_inv
	v_add_f64 v[8:9], v[16:17], -v[116:117]
	v_add_f64 v[10:11], v[18:19], -v[32:33]
	;; [unrolled: 1-line block ×8, first 2 shown]
	v_fma_f64 v[16:17], v[16:17], 2.0, -v[8:9]
	v_fma_f64 v[18:19], v[18:19], 2.0, -v[10:11]
	;; [unrolled: 1-line block ×8, first 2 shown]
	ds_write_b128 v243, v[8:11] offset:208
	ds_write_b128 v243, v[16:19]
	ds_write_b128 v240, v[28:31]
	ds_write_b128 v240, v[12:15] offset:208
	ds_write_b128 v157, v[0:3]
	ds_write_b128 v157, v[20:23] offset:208
	ds_write_b128 v156, v[4:7]
	ds_write_b128 v156, v[24:27] offset:208
	s_waitcnt lgkmcnt(0)
	s_barrier
	buffer_gl0_inv
	ds_read_b128 v[0:3], v145 offset:13312
	ds_read_b128 v[4:7], v145 offset:16640
	;; [unrolled: 1-line block ×4, first 2 shown]
	ds_read_b128 v[16:19], v145
	ds_read_b128 v[20:23], v145 offset:3328
	s_waitcnt lgkmcnt(5)
	v_mul_f64 v[24:25], v[46:47], v[2:3]
	v_mul_f64 v[26:27], v[46:47], v[0:1]
	s_waitcnt lgkmcnt(3)
	v_mul_f64 v[32:33], v[238:239], v[10:11]
	v_mul_f64 v[28:29], v[50:51], v[6:7]
	;; [unrolled: 1-line block ×4, first 2 shown]
	s_waitcnt lgkmcnt(2)
	v_mul_f64 v[42:43], v[234:235], v[14:15]
	v_mul_f64 v[38:39], v[234:235], v[12:13]
	v_fma_f64 v[24:25], v[44:45], v[0:1], v[24:25]
	v_fma_f64 v[26:27], v[44:45], v[2:3], -v[26:27]
	v_fma_f64 v[32:33], v[236:237], v[8:9], v[32:33]
	ds_read_b128 v[0:3], v145 offset:6656
	v_fma_f64 v[28:29], v[48:49], v[4:5], v[28:29]
	v_fma_f64 v[30:31], v[48:49], v[6:7], -v[30:31]
	ds_read_b128 v[4:7], v145 offset:9984
	s_waitcnt lgkmcnt(0)
	s_barrier
	buffer_gl0_inv
	v_fma_f64 v[34:35], v[236:237], v[10:11], -v[34:35]
	v_fma_f64 v[40:41], v[232:233], v[12:13], v[42:43]
	v_fma_f64 v[36:37], v[232:233], v[14:15], -v[38:39]
	v_add_f64 v[8:9], v[16:17], -v[24:25]
	v_add_f64 v[10:11], v[18:19], -v[26:27]
	;; [unrolled: 1-line block ×3, first 2 shown]
	buffer_load_dword v32, off, s[48:51], 0 offset:44 ; 4-byte Folded Reload
	v_add_f64 v[12:13], v[20:21], -v[28:29]
	v_add_f64 v[14:15], v[22:23], -v[30:31]
	;; [unrolled: 1-line block ×5, first 2 shown]
	v_fma_f64 v[16:17], v[16:17], 2.0, -v[8:9]
	v_fma_f64 v[18:19], v[18:19], 2.0, -v[10:11]
	;; [unrolled: 1-line block ×3, first 2 shown]
	s_waitcnt vmcnt(0)
	ds_write_b128 v32, v[8:11] offset:416
	ds_write_b128 v32, v[16:19]
	buffer_load_dword v8, off, s[48:51], 0 offset:40 ; 4-byte Folded Reload
	v_fma_f64 v[20:21], v[20:21], 2.0, -v[12:13]
	v_fma_f64 v[22:23], v[22:23], 2.0, -v[14:15]
	v_fma_f64 v[2:3], v[2:3], 2.0, -v[26:27]
	v_fma_f64 v[4:5], v[4:5], 2.0, -v[28:29]
	v_fma_f64 v[6:7], v[6:7], 2.0, -v[30:31]
	s_waitcnt vmcnt(0)
	ds_write_b128 v8, v[20:23]
	ds_write_b128 v8, v[12:15] offset:416
	buffer_load_dword v8, off, s[48:51], 0 offset:36 ; 4-byte Folded Reload
	s_waitcnt vmcnt(0)
	ds_write_b128 v8, v[0:3]
	ds_write_b128 v8, v[24:27] offset:416
	buffer_load_dword v0, off, s[48:51], 0 offset:32 ; 4-byte Folded Reload
	s_waitcnt vmcnt(0)
	ds_write_b128 v0, v[4:7]
	ds_write_b128 v0, v[28:31] offset:416
	s_waitcnt lgkmcnt(0)
	s_barrier
	buffer_gl0_inv
	ds_read_b128 v[0:3], v145 offset:6656
	ds_read_b128 v[4:7], v145 offset:13312
	;; [unrolled: 1-line block ×6, first 2 shown]
	s_clause 0x7
	buffer_load_dword v112, off, s[48:51], 0 offset:16
	buffer_load_dword v113, off, s[48:51], 0 offset:20
	;; [unrolled: 1-line block ×4, first 2 shown]
	buffer_load_dword v52, off, s[48:51], 0
	buffer_load_dword v53, off, s[48:51], 0 offset:4
	buffer_load_dword v54, off, s[48:51], 0 offset:8
	;; [unrolled: 1-line block ×3, first 2 shown]
	ds_read_b128 v[24:27], v145
	ds_read_b128 v[28:31], v145 offset:3328
	s_waitcnt vmcnt(0) lgkmcnt(0)
	s_barrier
	buffer_gl0_inv
	v_mul_f64 v[36:37], v[62:63], v[6:7]
	v_mul_f64 v[38:39], v[62:63], v[4:5]
	;; [unrolled: 1-line block ×7, first 2 shown]
	v_fma_f64 v[4:5], v[60:61], v[4:5], v[36:37]
	v_fma_f64 v[6:7], v[60:61], v[6:7], -v[38:39]
	v_fma_f64 v[12:13], v[72:73], v[12:13], v[44:45]
	v_fma_f64 v[16:17], v[68:69], v[16:17], v[48:49]
	v_fma_f64 v[18:19], v[68:69], v[18:19], -v[50:51]
	v_fma_f64 v[14:15], v[72:73], v[14:15], -v[46:47]
	v_add_f64 v[36:37], v[28:29], -v[16:17]
	v_add_f64 v[38:39], v[30:31], -v[18:19]
	v_fma_f64 v[28:29], v[28:29], 2.0, -v[36:37]
	v_fma_f64 v[30:31], v[30:31], 2.0, -v[38:39]
	v_mul_f64 v[32:33], v[114:115], v[2:3]
	v_mul_f64 v[34:35], v[114:115], v[0:1]
	;; [unrolled: 1-line block ×5, first 2 shown]
	v_fma_f64 v[22:23], v[64:65], v[22:23], -v[58:59]
	v_fma_f64 v[0:1], v[112:113], v[0:1], v[32:33]
	v_fma_f64 v[2:3], v[112:113], v[2:3], -v[34:35]
	v_fma_f64 v[8:9], v[52:53], v[8:9], v[40:41]
	;; [unrolled: 2-line block ×3, first 2 shown]
	v_add_f64 v[32:33], v[24:25], -v[4:5]
	v_add_f64 v[34:35], v[26:27], -v[6:7]
	;; [unrolled: 1-line block ×6, first 2 shown]
	v_fma_f64 v[22:23], v[24:25], 2.0, -v[32:33]
	v_fma_f64 v[26:27], v[26:27], 2.0, -v[34:35]
	v_fma_f64 v[10:11], v[0:1], 2.0, -v[4:5]
	v_add_f64 v[0:1], v[32:33], v[6:7]
	v_fma_f64 v[18:19], v[2:3], 2.0, -v[6:7]
	v_fma_f64 v[12:13], v[12:13], 2.0, -v[16:17]
	v_add_f64 v[6:7], v[38:39], -v[16:17]
	v_add_f64 v[2:3], v[34:35], -v[4:5]
	v_fma_f64 v[14:15], v[14:15], 2.0, -v[8:9]
	v_add_f64 v[4:5], v[36:37], v[8:9]
	v_add_f64 v[8:9], v[22:23], -v[10:11]
	v_fma_f64 v[16:17], v[32:33], 2.0, -v[0:1]
	buffer_load_dword v32, off, s[48:51], 0 offset:52 ; 4-byte Folded Reload
	v_add_f64 v[10:11], v[26:27], -v[18:19]
	v_add_f64 v[12:13], v[28:29], -v[12:13]
	v_fma_f64 v[18:19], v[34:35], 2.0, -v[2:3]
	v_add_f64 v[14:15], v[30:31], -v[14:15]
	v_fma_f64 v[20:21], v[36:37], 2.0, -v[4:5]
	v_fma_f64 v[24:25], v[22:23], 2.0, -v[8:9]
	;; [unrolled: 1-line block ×5, first 2 shown]
	s_waitcnt vmcnt(0)
	ds_write_b128 v32, v[0:3] offset:2496
	ds_write_b128 v32, v[16:19] offset:832
	;; [unrolled: 1-line block ×3, first 2 shown]
	ds_write_b128 v32, v[24:27]
	buffer_load_dword v0, off, s[48:51], 0 offset:48 ; 4-byte Folded Reload
	v_fma_f64 v[30:31], v[30:31], 2.0, -v[14:15]
	s_waitcnt vmcnt(0)
	ds_write_b128 v0, v[28:31]
	ds_write_b128 v0, v[20:23] offset:832
	ds_write_b128 v0, v[12:15] offset:1664
	ds_write_b128 v0, v[4:7] offset:2496
	s_waitcnt lgkmcnt(0)
	s_barrier
	buffer_gl0_inv
	ds_read_b128 v[0:3], v145 offset:13312
	ds_read_b128 v[4:7], v145 offset:16640
	;; [unrolled: 1-line block ×4, first 2 shown]
	ds_read_b128 v[16:19], v145
	ds_read_b128 v[20:23], v145 offset:3328
	s_waitcnt lgkmcnt(5)
	v_mul_f64 v[24:25], v[78:79], v[2:3]
	v_mul_f64 v[26:27], v[78:79], v[0:1]
	s_waitcnt lgkmcnt(4)
	v_mul_f64 v[28:29], v[78:79], v[6:7]
	v_mul_f64 v[30:31], v[78:79], v[4:5]
	;; [unrolled: 3-line block ×4, first 2 shown]
	v_fma_f64 v[24:25], v[76:77], v[0:1], v[24:25]
	v_fma_f64 v[26:27], v[76:77], v[2:3], -v[26:27]
	v_fma_f64 v[28:29], v[76:77], v[4:5], v[28:29]
	v_fma_f64 v[30:31], v[76:77], v[6:7], -v[30:31]
	;; [unrolled: 2-line block ×3, first 2 shown]
	v_fma_f64 v[36:37], v[84:85], v[12:13], v[36:37]
	ds_read_b128 v[0:3], v145 offset:6656
	ds_read_b128 v[4:7], v145 offset:9984
	v_fma_f64 v[38:39], v[84:85], v[14:15], -v[38:39]
	s_waitcnt lgkmcnt(0)
	s_barrier
	buffer_gl0_inv
	v_add_f64 v[8:9], v[16:17], -v[24:25]
	v_add_f64 v[10:11], v[18:19], -v[26:27]
	v_add_f64 v[12:13], v[20:21], -v[28:29]
	v_add_f64 v[14:15], v[22:23], -v[30:31]
	v_add_f64 v[24:25], v[0:1], -v[32:33]
	v_add_f64 v[26:27], v[2:3], -v[34:35]
	v_add_f64 v[28:29], v[4:5], -v[36:37]
	v_add_f64 v[30:31], v[6:7], -v[38:39]
	v_fma_f64 v[16:17], v[16:17], 2.0, -v[8:9]
	v_fma_f64 v[18:19], v[18:19], 2.0, -v[10:11]
	;; [unrolled: 1-line block ×8, first 2 shown]
	ds_write_b128 v145, v[8:11] offset:3328
	ds_write_b128 v145, v[12:15] offset:9984
	ds_write_b128 v145, v[16:19]
	ds_write_b128 v145, v[20:23] offset:6656
	ds_write_b128 v56, v[0:3] offset:13312
	;; [unrolled: 1-line block ×5, first 2 shown]
	s_waitcnt lgkmcnt(0)
	s_barrier
	buffer_gl0_inv
	ds_read_b128 v[0:3], v145 offset:13312
	ds_read_b128 v[4:7], v145 offset:16640
	;; [unrolled: 1-line block ×4, first 2 shown]
	ds_read_b128 v[16:19], v145
	ds_read_b128 v[20:23], v145 offset:3328
	s_waitcnt lgkmcnt(5)
	v_mul_f64 v[24:25], v[90:91], v[2:3]
	v_mul_f64 v[26:27], v[90:91], v[0:1]
	s_waitcnt lgkmcnt(4)
	v_mul_f64 v[28:29], v[94:95], v[6:7]
	v_mul_f64 v[30:31], v[94:95], v[4:5]
	;; [unrolled: 3-line block ×4, first 2 shown]
	v_fma_f64 v[24:25], v[88:89], v[0:1], v[24:25]
	v_fma_f64 v[26:27], v[88:89], v[2:3], -v[26:27]
	v_fma_f64 v[28:29], v[92:93], v[4:5], v[28:29]
	v_fma_f64 v[30:31], v[92:93], v[6:7], -v[30:31]
	;; [unrolled: 2-line block ×4, first 2 shown]
	ds_read_b128 v[0:3], v145 offset:6656
	ds_read_b128 v[4:7], v145 offset:9984
	s_waitcnt lgkmcnt(0)
	s_barrier
	buffer_gl0_inv
	v_add_f64 v[8:9], v[16:17], -v[24:25]
	v_add_f64 v[10:11], v[18:19], -v[26:27]
	;; [unrolled: 1-line block ×8, first 2 shown]
	v_fma_f64 v[16:17], v[16:17], 2.0, -v[8:9]
	v_fma_f64 v[18:19], v[18:19], 2.0, -v[10:11]
	;; [unrolled: 1-line block ×8, first 2 shown]
	ds_write_b128 v145, v[8:11] offset:6656
	ds_write_b128 v145, v[12:15] offset:9984
	;; [unrolled: 1-line block ×4, first 2 shown]
	ds_write_b128 v145, v[16:19]
	ds_write_b128 v145, v[20:23] offset:3328
	ds_write_b128 v145, v[0:3] offset:13312
	;; [unrolled: 1-line block ×3, first 2 shown]
	s_waitcnt lgkmcnt(0)
	s_barrier
	buffer_gl0_inv
	ds_read_b128 v[0:3], v145 offset:13312
	ds_read_b128 v[4:7], v145 offset:16640
	;; [unrolled: 1-line block ×4, first 2 shown]
	ds_read_b128 v[16:19], v145
	ds_read_b128 v[20:23], v145 offset:3328
	s_waitcnt lgkmcnt(5)
	v_mul_f64 v[24:25], v[98:99], v[2:3]
	v_mul_f64 v[26:27], v[98:99], v[0:1]
	s_waitcnt lgkmcnt(4)
	v_mul_f64 v[28:29], v[110:111], v[6:7]
	v_mul_f64 v[30:31], v[110:111], v[4:5]
	;; [unrolled: 3-line block ×4, first 2 shown]
	v_fma_f64 v[24:25], v[96:97], v[0:1], v[24:25]
	v_fma_f64 v[26:27], v[96:97], v[2:3], -v[26:27]
	v_fma_f64 v[28:29], v[108:109], v[4:5], v[28:29]
	v_fma_f64 v[30:31], v[108:109], v[6:7], -v[30:31]
	;; [unrolled: 2-line block ×4, first 2 shown]
	ds_read_b128 v[0:3], v145 offset:6656
	ds_read_b128 v[4:7], v145 offset:9984
	s_waitcnt lgkmcnt(3)
	v_add_f64 v[8:9], v[16:17], -v[24:25]
	v_add_f64 v[10:11], v[18:19], -v[26:27]
	s_waitcnt lgkmcnt(2)
	v_add_f64 v[12:13], v[20:21], -v[28:29]
	v_add_f64 v[14:15], v[22:23], -v[30:31]
	;; [unrolled: 3-line block ×4, first 2 shown]
	v_fma_f64 v[16:17], v[16:17], 2.0, -v[8:9]
	v_fma_f64 v[18:19], v[18:19], 2.0, -v[10:11]
	;; [unrolled: 1-line block ×8, first 2 shown]
	ds_write_b128 v145, v[8:11] offset:13312
	ds_write_b128 v145, v[12:15] offset:16640
	;; [unrolled: 1-line block ×4, first 2 shown]
	ds_write_b128 v145, v[16:19]
	ds_write_b128 v145, v[20:23] offset:3328
	ds_write_b128 v145, v[0:3] offset:6656
	;; [unrolled: 1-line block ×3, first 2 shown]
	s_waitcnt lgkmcnt(0)
	s_barrier
	buffer_gl0_inv
	s_and_b32 exec_lo, exec_lo, vcc_lo
	s_cbranch_execz .LBB0_15
; %bb.14:
	buffer_load_dword v146, off, s[48:51], 0 offset:56 ; 4-byte Folded Reload
	v_lshlrev_b32_e32 v4, 4, v246
	v_lshlrev_b32_e32 v8, 4, v144
	;; [unrolled: 1-line block ×4, first 2 shown]
	global_load_dwordx4 v[0:3], v254, s[14:15]
	v_lshlrev_b32_e32 v20, 4, v245
	s_clause 0x1
	global_load_dwordx4 v[4:7], v4, s[14:15]
	global_load_dwordx4 v[8:11], v8, s[14:15]
	v_lshlrev_b32_e32 v24, 4, v249
	v_lshlrev_b32_e32 v28, 4, v250
	s_clause 0x1
	global_load_dwordx4 v[12:15], v12, s[14:15]
	global_load_dwordx4 v[16:19], v16, s[14:15]
	v_lshlrev_b32_e32 v32, 4, v251
	v_lshlrev_b32_e32 v36, 4, v252
	s_clause 0x3
	global_load_dwordx4 v[20:23], v20, s[14:15]
	global_load_dwordx4 v[24:27], v24, s[14:15]
	global_load_dwordx4 v[28:31], v28, s[14:15]
	global_load_dwordx4 v[32:35], v32, s[14:15]
	v_lshlrev_b32_e32 v40, 4, v253
	v_lshlrev_b32_e32 v44, 4, v255
	global_load_dwordx4 v[36:39], v36, s[14:15]
	v_mad_u64_u32 v[104:105], null, s6, v244, 0
	v_mad_u64_u32 v[106:107], null, s4, v241, 0
	;; [unrolled: 1-line block ×25, first 2 shown]
	v_mov_b32_e32 v105, v132
	v_mov_b32_e32 v107, v133
	;; [unrolled: 1-line block ×5, first 2 shown]
	v_lshlrev_b64 v[104:105], 4, v[104:105]
	v_mov_b32_e32 v115, v137
	v_mov_b32_e32 v117, v138
	;; [unrolled: 1-line block ×5, first 2 shown]
	v_add_co_u32 v156, vcc_lo, s12, v104
	v_add_co_ci_u32_e32 v157, vcc_lo, s13, v105, vcc_lo
	v_mov_b32_e32 v125, v142
	v_mov_b32_e32 v127, v143
	v_lshlrev_b64 v[106:107], 4, v[106:107]
	v_lshlrev_b64 v[108:109], 4, v[108:109]
	;; [unrolled: 1-line block ×6, first 2 shown]
	v_add_co_u32 v106, vcc_lo, v156, v106
	v_add_co_ci_u32_e32 v107, vcc_lo, v157, v107, vcc_lo
	v_add_co_u32 v108, vcc_lo, v156, v108
	v_add_co_ci_u32_e32 v109, vcc_lo, v157, v109, vcc_lo
	;; [unrolled: 2-line block ×4, first 2 shown]
	v_lshlrev_b64 v[118:119], 4, v[118:119]
	v_add_co_u32 v114, vcc_lo, v156, v114
	s_mov_b32 s0, 0x13b13b14
	s_mov_b32 s1, 0x3f43b13b
	v_add_co_ci_u32_e32 v115, vcc_lo, v157, v115, vcc_lo
	v_lshlrev_b64 v[120:121], 4, v[120:121]
	v_add_co_u32 v116, vcc_lo, v156, v116
	v_add_co_ci_u32_e32 v117, vcc_lo, v157, v117, vcc_lo
	v_lshlrev_b64 v[122:123], 4, v[122:123]
	v_add_co_u32 v118, vcc_lo, v156, v118
	;; [unrolled: 3-line block ×4, first 2 shown]
	v_add_co_ci_u32_e32 v123, vcc_lo, v157, v123, vcc_lo
	v_add_co_u32 v124, vcc_lo, v156, v124
	v_add_co_ci_u32_e32 v125, vcc_lo, v157, v125, vcc_lo
	s_waitcnt vmcnt(10)
	v_lshlrev_b32_e32 v48, 4, v146
	v_mad_u64_u32 v[130:131], null, s4, v146, 0
	s_clause 0x2
	global_load_dwordx4 v[40:43], v40, s[14:15]
	global_load_dwordx4 v[44:47], v44, s[14:15]
	;; [unrolled: 1-line block ×3, first 2 shown]
	ds_read_b128 v[52:55], v145
	ds_read_b128 v[56:59], v254 offset:2048
	ds_read_b128 v[60:63], v254 offset:4096
	;; [unrolled: 1-line block ×8, first 2 shown]
	v_mad_u64_u32 v[144:145], null, s5, v255, v[129:130]
	v_mad_u64_u32 v[145:146], null, s5, v146, v[131:132]
	ds_read_b128 v[88:91], v254 offset:18432
	ds_read_b128 v[92:95], v254 offset:20480
	;; [unrolled: 1-line block ×4, first 2 shown]
	v_mov_b32_e32 v129, v144
	v_mov_b32_e32 v131, v145
	v_lshlrev_b64 v[128:129], 4, v[128:129]
	v_lshlrev_b64 v[104:105], 4, v[130:131]
	s_waitcnt vmcnt(12) lgkmcnt(12)
	v_mul_f64 v[130:131], v[54:55], v[2:3]
	v_mul_f64 v[2:3], v[52:53], v[2:3]
	s_waitcnt vmcnt(11) lgkmcnt(11)
	v_mul_f64 v[132:133], v[58:59], v[6:7]
	v_mul_f64 v[6:7], v[56:57], v[6:7]
	;; [unrolled: 3-line block ×10, first 2 shown]
	v_fma_f64 v[52:53], v[52:53], v[0:1], v[130:131]
	v_fma_f64 v[2:3], v[0:1], v[54:55], -v[2:3]
	v_fma_f64 v[54:55], v[56:57], v[4:5], v[132:133]
	v_fma_f64 v[6:7], v[4:5], v[58:59], -v[6:7]
	;; [unrolled: 2-line block ×10, first 2 shown]
	v_mul_f64 v[0:1], v[52:53], s[0:1]
	v_mul_f64 v[2:3], v[2:3], s[0:1]
	;; [unrolled: 1-line block ×20, first 2 shown]
	v_add_co_u32 v52, vcc_lo, v156, v126
	v_add_co_ci_u32_e32 v53, vcc_lo, v157, v127, vcc_lo
	v_add_co_u32 v54, vcc_lo, v156, v128
	v_add_co_ci_u32_e32 v55, vcc_lo, v157, v129, vcc_lo
	;; [unrolled: 2-line block ×3, first 2 shown]
	s_waitcnt vmcnt(2) lgkmcnt(2)
	v_mul_f64 v[150:151], v[94:95], v[42:43]
	v_mul_f64 v[42:43], v[92:93], v[42:43]
	s_waitcnt vmcnt(1) lgkmcnt(1)
	v_mul_f64 v[152:153], v[98:99], v[46:47]
	v_mul_f64 v[46:47], v[96:97], v[46:47]
	;; [unrolled: 3-line block ×3, first 2 shown]
	v_fma_f64 v[72:73], v[92:93], v[40:41], v[150:151]
	v_fma_f64 v[42:43], v[40:41], v[94:95], -v[42:43]
	v_fma_f64 v[74:75], v[96:97], v[44:45], v[152:153]
	v_fma_f64 v[46:47], v[44:45], v[98:99], -v[46:47]
	;; [unrolled: 2-line block ×3, first 2 shown]
	v_mul_f64 v[40:41], v[72:73], s[0:1]
	v_mul_f64 v[42:43], v[42:43], s[0:1]
	;; [unrolled: 1-line block ×6, first 2 shown]
	global_store_dwordx4 v[106:107], v[0:3], off
	global_store_dwordx4 v[108:109], v[4:7], off
	global_store_dwordx4 v[110:111], v[8:11], off
	global_store_dwordx4 v[112:113], v[12:15], off
	global_store_dwordx4 v[114:115], v[16:19], off
	global_store_dwordx4 v[116:117], v[20:23], off
	global_store_dwordx4 v[118:119], v[24:27], off
	global_store_dwordx4 v[120:121], v[28:31], off
	global_store_dwordx4 v[122:123], v[32:35], off
	global_store_dwordx4 v[124:125], v[36:39], off
	global_store_dwordx4 v[52:53], v[40:43], off
	global_store_dwordx4 v[54:55], v[44:47], off
	global_store_dwordx4 v[56:57], v[48:51], off
.LBB0_15:
	s_endpgm
	.section	.rodata,"a",@progbits
	.p2align	6, 0x0
	.amdhsa_kernel bluestein_single_fwd_len1664_dim1_dp_op_CI_CI
		.amdhsa_group_segment_fixed_size 26624
		.amdhsa_private_segment_fixed_size 80
		.amdhsa_kernarg_size 104
		.amdhsa_user_sgpr_count 6
		.amdhsa_user_sgpr_private_segment_buffer 1
		.amdhsa_user_sgpr_dispatch_ptr 0
		.amdhsa_user_sgpr_queue_ptr 0
		.amdhsa_user_sgpr_kernarg_segment_ptr 1
		.amdhsa_user_sgpr_dispatch_id 0
		.amdhsa_user_sgpr_flat_scratch_init 0
		.amdhsa_user_sgpr_private_segment_size 0
		.amdhsa_wavefront_size32 1
		.amdhsa_uses_dynamic_stack 0
		.amdhsa_system_sgpr_private_segment_wavefront_offset 1
		.amdhsa_system_sgpr_workgroup_id_x 1
		.amdhsa_system_sgpr_workgroup_id_y 0
		.amdhsa_system_sgpr_workgroup_id_z 0
		.amdhsa_system_sgpr_workgroup_info 0
		.amdhsa_system_vgpr_workitem_id 0
		.amdhsa_next_free_vgpr 256
		.amdhsa_next_free_sgpr 52
		.amdhsa_reserve_vcc 1
		.amdhsa_reserve_flat_scratch 0
		.amdhsa_float_round_mode_32 0
		.amdhsa_float_round_mode_16_64 0
		.amdhsa_float_denorm_mode_32 3
		.amdhsa_float_denorm_mode_16_64 3
		.amdhsa_dx10_clamp 1
		.amdhsa_ieee_mode 1
		.amdhsa_fp16_overflow 0
		.amdhsa_workgroup_processor_mode 1
		.amdhsa_memory_ordered 1
		.amdhsa_forward_progress 0
		.amdhsa_shared_vgpr_count 0
		.amdhsa_exception_fp_ieee_invalid_op 0
		.amdhsa_exception_fp_denorm_src 0
		.amdhsa_exception_fp_ieee_div_zero 0
		.amdhsa_exception_fp_ieee_overflow 0
		.amdhsa_exception_fp_ieee_underflow 0
		.amdhsa_exception_fp_ieee_inexact 0
		.amdhsa_exception_int_div_zero 0
	.end_amdhsa_kernel
	.text
.Lfunc_end0:
	.size	bluestein_single_fwd_len1664_dim1_dp_op_CI_CI, .Lfunc_end0-bluestein_single_fwd_len1664_dim1_dp_op_CI_CI
                                        ; -- End function
	.section	.AMDGPU.csdata,"",@progbits
; Kernel info:
; codeLenInByte = 19792
; NumSgprs: 54
; NumVgprs: 256
; ScratchSize: 80
; MemoryBound: 0
; FloatMode: 240
; IeeeMode: 1
; LDSByteSize: 26624 bytes/workgroup (compile time only)
; SGPRBlocks: 6
; VGPRBlocks: 31
; NumSGPRsForWavesPerEU: 54
; NumVGPRsForWavesPerEU: 256
; Occupancy: 4
; WaveLimiterHint : 1
; COMPUTE_PGM_RSRC2:SCRATCH_EN: 1
; COMPUTE_PGM_RSRC2:USER_SGPR: 6
; COMPUTE_PGM_RSRC2:TRAP_HANDLER: 0
; COMPUTE_PGM_RSRC2:TGID_X_EN: 1
; COMPUTE_PGM_RSRC2:TGID_Y_EN: 0
; COMPUTE_PGM_RSRC2:TGID_Z_EN: 0
; COMPUTE_PGM_RSRC2:TIDIG_COMP_CNT: 0
	.text
	.p2alignl 6, 3214868480
	.fill 48, 4, 3214868480
	.type	__hip_cuid_84a4bf507bac5bdf,@object ; @__hip_cuid_84a4bf507bac5bdf
	.section	.bss,"aw",@nobits
	.globl	__hip_cuid_84a4bf507bac5bdf
__hip_cuid_84a4bf507bac5bdf:
	.byte	0                               ; 0x0
	.size	__hip_cuid_84a4bf507bac5bdf, 1

	.ident	"AMD clang version 19.0.0git (https://github.com/RadeonOpenCompute/llvm-project roc-6.4.0 25133 c7fe45cf4b819c5991fe208aaa96edf142730f1d)"
	.section	".note.GNU-stack","",@progbits
	.addrsig
	.addrsig_sym __hip_cuid_84a4bf507bac5bdf
	.amdgpu_metadata
---
amdhsa.kernels:
  - .args:
      - .actual_access:  read_only
        .address_space:  global
        .offset:         0
        .size:           8
        .value_kind:     global_buffer
      - .actual_access:  read_only
        .address_space:  global
        .offset:         8
        .size:           8
        .value_kind:     global_buffer
      - .actual_access:  read_only
        .address_space:  global
        .offset:         16
        .size:           8
        .value_kind:     global_buffer
      - .actual_access:  read_only
        .address_space:  global
        .offset:         24
        .size:           8
        .value_kind:     global_buffer
      - .actual_access:  read_only
        .address_space:  global
        .offset:         32
        .size:           8
        .value_kind:     global_buffer
      - .offset:         40
        .size:           8
        .value_kind:     by_value
      - .address_space:  global
        .offset:         48
        .size:           8
        .value_kind:     global_buffer
      - .address_space:  global
        .offset:         56
        .size:           8
        .value_kind:     global_buffer
      - .address_space:  global
        .offset:         64
        .size:           8
        .value_kind:     global_buffer
      - .address_space:  global
        .offset:         72
        .size:           8
        .value_kind:     global_buffer
      - .offset:         80
        .size:           4
        .value_kind:     by_value
      - .address_space:  global
        .offset:         88
        .size:           8
        .value_kind:     global_buffer
      - .address_space:  global
        .offset:         96
        .size:           8
        .value_kind:     global_buffer
    .group_segment_fixed_size: 26624
    .kernarg_segment_align: 8
    .kernarg_segment_size: 104
    .language:       OpenCL C
    .language_version:
      - 2
      - 0
    .max_flat_workgroup_size: 208
    .name:           bluestein_single_fwd_len1664_dim1_dp_op_CI_CI
    .private_segment_fixed_size: 80
    .sgpr_count:     54
    .sgpr_spill_count: 0
    .symbol:         bluestein_single_fwd_len1664_dim1_dp_op_CI_CI.kd
    .uniform_work_group_size: 1
    .uses_dynamic_stack: false
    .vgpr_count:     256
    .vgpr_spill_count: 19
    .wavefront_size: 32
    .workgroup_processor_mode: 1
amdhsa.target:   amdgcn-amd-amdhsa--gfx1030
amdhsa.version:
  - 1
  - 2
...

	.end_amdgpu_metadata
